;; amdgpu-corpus repo=ROCm/rocFFT kind=compiled arch=gfx1201 opt=O3
	.text
	.amdgcn_target "amdgcn-amd-amdhsa--gfx1201"
	.amdhsa_code_object_version 6
	.protected	fft_rtc_fwd_len510_factors_17_2_3_5_wgs_238_tpt_34_halfLds_sp_ip_CI_unitstride_sbrr_R2C_dirReg ; -- Begin function fft_rtc_fwd_len510_factors_17_2_3_5_wgs_238_tpt_34_halfLds_sp_ip_CI_unitstride_sbrr_R2C_dirReg
	.globl	fft_rtc_fwd_len510_factors_17_2_3_5_wgs_238_tpt_34_halfLds_sp_ip_CI_unitstride_sbrr_R2C_dirReg
	.p2align	8
	.type	fft_rtc_fwd_len510_factors_17_2_3_5_wgs_238_tpt_34_halfLds_sp_ip_CI_unitstride_sbrr_R2C_dirReg,@function
fft_rtc_fwd_len510_factors_17_2_3_5_wgs_238_tpt_34_halfLds_sp_ip_CI_unitstride_sbrr_R2C_dirReg: ; @fft_rtc_fwd_len510_factors_17_2_3_5_wgs_238_tpt_34_halfLds_sp_ip_CI_unitstride_sbrr_R2C_dirReg
; %bb.0:
	s_load_b128 s[4:7], s[0:1], 0x0
	v_mul_u32_u24_e32 v1, 0x788, v0
	s_clause 0x1
	s_load_b64 s[8:9], s[0:1], 0x50
	s_load_b64 s[10:11], s[0:1], 0x18
	v_mov_b32_e32 v5, 0
	v_lshrrev_b32_e32 v1, 16, v1
	s_delay_alu instid0(VALU_DEP_1) | instskip(SKIP_3) | instid1(VALU_DEP_1)
	v_mad_co_u64_u32 v[1:2], null, ttmp9, 7, v[1:2]
	v_mov_b32_e32 v3, 0
	v_mov_b32_e32 v4, 0
	;; [unrolled: 1-line block ×4, first 2 shown]
	s_wait_kmcnt 0x0
	v_cmp_lt_u64_e64 s2, s[6:7], 2
	v_mov_b32_e32 v9, v1
	s_delay_alu instid0(VALU_DEP_2)
	s_and_b32 vcc_lo, exec_lo, s2
	s_cbranch_vccnz .LBB0_8
; %bb.1:
	s_load_b64 s[2:3], s[0:1], 0x10
	v_dual_mov_b32 v3, 0 :: v_dual_mov_b32 v8, v2
	v_dual_mov_b32 v4, 0 :: v_dual_mov_b32 v7, v1
	s_add_nc_u64 s[12:13], s[10:11], 8
	s_mov_b64 s[14:15], 1
	s_wait_kmcnt 0x0
	s_add_nc_u64 s[16:17], s[2:3], 8
	s_mov_b32 s3, 0
.LBB0_2:                                ; =>This Inner Loop Header: Depth=1
	s_load_b64 s[18:19], s[16:17], 0x0
                                        ; implicit-def: $vgpr9_vgpr10
	s_mov_b32 s2, exec_lo
	s_wait_kmcnt 0x0
	v_or_b32_e32 v6, s19, v8
	s_delay_alu instid0(VALU_DEP_1)
	v_cmpx_ne_u64_e32 0, v[5:6]
	s_wait_alu 0xfffe
	s_xor_b32 s20, exec_lo, s2
	s_cbranch_execz .LBB0_4
; %bb.3:                                ;   in Loop: Header=BB0_2 Depth=1
	s_cvt_f32_u32 s2, s18
	s_cvt_f32_u32 s21, s19
	s_sub_nc_u64 s[24:25], 0, s[18:19]
	s_wait_alu 0xfffe
	s_delay_alu instid0(SALU_CYCLE_1) | instskip(SKIP_1) | instid1(SALU_CYCLE_2)
	s_fmamk_f32 s2, s21, 0x4f800000, s2
	s_wait_alu 0xfffe
	v_s_rcp_f32 s2, s2
	s_delay_alu instid0(TRANS32_DEP_1) | instskip(SKIP_1) | instid1(SALU_CYCLE_2)
	s_mul_f32 s2, s2, 0x5f7ffffc
	s_wait_alu 0xfffe
	s_mul_f32 s21, s2, 0x2f800000
	s_wait_alu 0xfffe
	s_delay_alu instid0(SALU_CYCLE_2) | instskip(SKIP_1) | instid1(SALU_CYCLE_2)
	s_trunc_f32 s21, s21
	s_wait_alu 0xfffe
	s_fmamk_f32 s2, s21, 0xcf800000, s2
	s_cvt_u32_f32 s23, s21
	s_wait_alu 0xfffe
	s_delay_alu instid0(SALU_CYCLE_1) | instskip(SKIP_1) | instid1(SALU_CYCLE_2)
	s_cvt_u32_f32 s22, s2
	s_wait_alu 0xfffe
	s_mul_u64 s[26:27], s[24:25], s[22:23]
	s_wait_alu 0xfffe
	s_mul_hi_u32 s29, s22, s27
	s_mul_i32 s28, s22, s27
	s_mul_hi_u32 s2, s22, s26
	s_mul_i32 s30, s23, s26
	s_wait_alu 0xfffe
	s_add_nc_u64 s[28:29], s[2:3], s[28:29]
	s_mul_hi_u32 s21, s23, s26
	s_mul_hi_u32 s31, s23, s27
	s_add_co_u32 s2, s28, s30
	s_wait_alu 0xfffe
	s_add_co_ci_u32 s2, s29, s21
	s_mul_i32 s26, s23, s27
	s_add_co_ci_u32 s27, s31, 0
	s_wait_alu 0xfffe
	s_add_nc_u64 s[26:27], s[2:3], s[26:27]
	s_wait_alu 0xfffe
	v_add_co_u32 v2, s2, s22, s26
	s_delay_alu instid0(VALU_DEP_1) | instskip(SKIP_1) | instid1(VALU_DEP_1)
	s_cmp_lg_u32 s2, 0
	s_add_co_ci_u32 s23, s23, s27
	v_readfirstlane_b32 s22, v2
	s_wait_alu 0xfffe
	s_delay_alu instid0(VALU_DEP_1)
	s_mul_u64 s[24:25], s[24:25], s[22:23]
	s_wait_alu 0xfffe
	s_mul_hi_u32 s27, s22, s25
	s_mul_i32 s26, s22, s25
	s_mul_hi_u32 s2, s22, s24
	s_mul_i32 s28, s23, s24
	s_wait_alu 0xfffe
	s_add_nc_u64 s[26:27], s[2:3], s[26:27]
	s_mul_hi_u32 s21, s23, s24
	s_mul_hi_u32 s22, s23, s25
	s_wait_alu 0xfffe
	s_add_co_u32 s2, s26, s28
	s_add_co_ci_u32 s2, s27, s21
	s_mul_i32 s24, s23, s25
	s_add_co_ci_u32 s25, s22, 0
	s_wait_alu 0xfffe
	s_add_nc_u64 s[24:25], s[2:3], s[24:25]
	s_wait_alu 0xfffe
	v_add_co_u32 v2, s2, v2, s24
	s_delay_alu instid0(VALU_DEP_1) | instskip(SKIP_1) | instid1(VALU_DEP_1)
	s_cmp_lg_u32 s2, 0
	s_add_co_ci_u32 s2, s23, s25
	v_mul_hi_u32 v6, v7, v2
	s_wait_alu 0xfffe
	v_mad_co_u64_u32 v[9:10], null, v7, s2, 0
	v_mad_co_u64_u32 v[11:12], null, v8, v2, 0
	;; [unrolled: 1-line block ×3, first 2 shown]
	s_delay_alu instid0(VALU_DEP_3) | instskip(SKIP_1) | instid1(VALU_DEP_4)
	v_add_co_u32 v2, vcc_lo, v6, v9
	s_wait_alu 0xfffd
	v_add_co_ci_u32_e32 v6, vcc_lo, 0, v10, vcc_lo
	s_delay_alu instid0(VALU_DEP_2) | instskip(SKIP_1) | instid1(VALU_DEP_2)
	v_add_co_u32 v2, vcc_lo, v2, v11
	s_wait_alu 0xfffd
	v_add_co_ci_u32_e32 v2, vcc_lo, v6, v12, vcc_lo
	s_wait_alu 0xfffd
	v_add_co_ci_u32_e32 v6, vcc_lo, 0, v14, vcc_lo
	s_delay_alu instid0(VALU_DEP_2) | instskip(SKIP_1) | instid1(VALU_DEP_2)
	v_add_co_u32 v2, vcc_lo, v2, v13
	s_wait_alu 0xfffd
	v_add_co_ci_u32_e32 v6, vcc_lo, 0, v6, vcc_lo
	s_delay_alu instid0(VALU_DEP_2) | instskip(SKIP_1) | instid1(VALU_DEP_3)
	v_mul_lo_u32 v11, s19, v2
	v_mad_co_u64_u32 v[9:10], null, s18, v2, 0
	v_mul_lo_u32 v12, s18, v6
	s_delay_alu instid0(VALU_DEP_2) | instskip(NEXT) | instid1(VALU_DEP_2)
	v_sub_co_u32 v9, vcc_lo, v7, v9
	v_add3_u32 v10, v10, v12, v11
	s_delay_alu instid0(VALU_DEP_1) | instskip(SKIP_1) | instid1(VALU_DEP_1)
	v_sub_nc_u32_e32 v11, v8, v10
	s_wait_alu 0xfffd
	v_subrev_co_ci_u32_e64 v11, s2, s19, v11, vcc_lo
	v_add_co_u32 v12, s2, v2, 2
	s_wait_alu 0xf1ff
	v_add_co_ci_u32_e64 v13, s2, 0, v6, s2
	v_sub_co_u32 v14, s2, v9, s18
	v_sub_co_ci_u32_e32 v10, vcc_lo, v8, v10, vcc_lo
	s_wait_alu 0xf1ff
	v_subrev_co_ci_u32_e64 v11, s2, 0, v11, s2
	s_delay_alu instid0(VALU_DEP_3) | instskip(NEXT) | instid1(VALU_DEP_3)
	v_cmp_le_u32_e32 vcc_lo, s18, v14
	v_cmp_eq_u32_e64 s2, s19, v10
	s_wait_alu 0xfffd
	v_cndmask_b32_e64 v14, 0, -1, vcc_lo
	v_cmp_le_u32_e32 vcc_lo, s19, v11
	s_wait_alu 0xfffd
	v_cndmask_b32_e64 v15, 0, -1, vcc_lo
	v_cmp_le_u32_e32 vcc_lo, s18, v9
	;; [unrolled: 3-line block ×3, first 2 shown]
	s_wait_alu 0xfffd
	v_cndmask_b32_e64 v16, 0, -1, vcc_lo
	v_cmp_eq_u32_e32 vcc_lo, s19, v11
	s_wait_alu 0xf1ff
	s_delay_alu instid0(VALU_DEP_2)
	v_cndmask_b32_e64 v9, v16, v9, s2
	s_wait_alu 0xfffd
	v_cndmask_b32_e32 v11, v15, v14, vcc_lo
	v_add_co_u32 v14, vcc_lo, v2, 1
	s_wait_alu 0xfffd
	v_add_co_ci_u32_e32 v15, vcc_lo, 0, v6, vcc_lo
	s_delay_alu instid0(VALU_DEP_3) | instskip(SKIP_1) | instid1(VALU_DEP_2)
	v_cmp_ne_u32_e32 vcc_lo, 0, v11
	s_wait_alu 0xfffd
	v_dual_cndmask_b32 v10, v15, v13 :: v_dual_cndmask_b32 v11, v14, v12
	v_cmp_ne_u32_e32 vcc_lo, 0, v9
	s_wait_alu 0xfffd
	s_delay_alu instid0(VALU_DEP_2) | instskip(NEXT) | instid1(VALU_DEP_3)
	v_cndmask_b32_e32 v10, v6, v10, vcc_lo
	v_cndmask_b32_e32 v9, v2, v11, vcc_lo
.LBB0_4:                                ;   in Loop: Header=BB0_2 Depth=1
	s_wait_alu 0xfffe
	s_and_not1_saveexec_b32 s2, s20
	s_cbranch_execz .LBB0_6
; %bb.5:                                ;   in Loop: Header=BB0_2 Depth=1
	v_cvt_f32_u32_e32 v2, s18
	s_sub_co_i32 s20, 0, s18
	s_delay_alu instid0(VALU_DEP_1) | instskip(NEXT) | instid1(TRANS32_DEP_1)
	v_rcp_iflag_f32_e32 v2, v2
	v_mul_f32_e32 v2, 0x4f7ffffe, v2
	s_delay_alu instid0(VALU_DEP_1) | instskip(SKIP_1) | instid1(VALU_DEP_1)
	v_cvt_u32_f32_e32 v2, v2
	s_wait_alu 0xfffe
	v_mul_lo_u32 v6, s20, v2
	s_delay_alu instid0(VALU_DEP_1) | instskip(NEXT) | instid1(VALU_DEP_1)
	v_mul_hi_u32 v6, v2, v6
	v_add_nc_u32_e32 v2, v2, v6
	s_delay_alu instid0(VALU_DEP_1) | instskip(NEXT) | instid1(VALU_DEP_1)
	v_mul_hi_u32 v2, v7, v2
	v_mul_lo_u32 v6, v2, s18
	v_add_nc_u32_e32 v9, 1, v2
	s_delay_alu instid0(VALU_DEP_2) | instskip(NEXT) | instid1(VALU_DEP_1)
	v_sub_nc_u32_e32 v6, v7, v6
	v_subrev_nc_u32_e32 v10, s18, v6
	v_cmp_le_u32_e32 vcc_lo, s18, v6
	s_wait_alu 0xfffd
	s_delay_alu instid0(VALU_DEP_2) | instskip(SKIP_2) | instid1(VALU_DEP_3)
	v_cndmask_b32_e32 v6, v6, v10, vcc_lo
	v_mov_b32_e32 v10, v5
	v_cndmask_b32_e32 v2, v2, v9, vcc_lo
	v_cmp_le_u32_e32 vcc_lo, s18, v6
	s_delay_alu instid0(VALU_DEP_2) | instskip(SKIP_1) | instid1(VALU_DEP_1)
	v_add_nc_u32_e32 v9, 1, v2
	s_wait_alu 0xfffd
	v_cndmask_b32_e32 v9, v2, v9, vcc_lo
.LBB0_6:                                ;   in Loop: Header=BB0_2 Depth=1
	s_wait_alu 0xfffe
	s_or_b32 exec_lo, exec_lo, s2
	s_load_b64 s[20:21], s[12:13], 0x0
	v_mul_lo_u32 v2, v10, s18
	v_mul_lo_u32 v6, v9, s19
	v_mad_co_u64_u32 v[11:12], null, v9, s18, 0
	s_add_nc_u64 s[14:15], s[14:15], 1
	s_add_nc_u64 s[12:13], s[12:13], 8
	s_wait_alu 0xfffe
	v_cmp_ge_u64_e64 s2, s[14:15], s[6:7]
	s_add_nc_u64 s[16:17], s[16:17], 8
	s_delay_alu instid0(VALU_DEP_2) | instskip(NEXT) | instid1(VALU_DEP_3)
	v_add3_u32 v2, v12, v6, v2
	v_sub_co_u32 v6, vcc_lo, v7, v11
	s_wait_alu 0xfffd
	s_delay_alu instid0(VALU_DEP_2) | instskip(SKIP_3) | instid1(VALU_DEP_2)
	v_sub_co_ci_u32_e32 v2, vcc_lo, v8, v2, vcc_lo
	s_and_b32 vcc_lo, exec_lo, s2
	s_wait_kmcnt 0x0
	v_mul_lo_u32 v7, s21, v6
	v_mul_lo_u32 v2, s20, v2
	v_mad_co_u64_u32 v[3:4], null, s20, v6, v[3:4]
	s_delay_alu instid0(VALU_DEP_1)
	v_add3_u32 v4, v7, v4, v2
	s_wait_alu 0xfffe
	s_cbranch_vccnz .LBB0_8
; %bb.7:                                ;   in Loop: Header=BB0_2 Depth=1
	v_dual_mov_b32 v7, v9 :: v_dual_mov_b32 v8, v10
	s_branch .LBB0_2
.LBB0_8:
	v_mul_hi_u32 v2, 0x24924925, v1
	s_lshl_b64 s[2:3], s[6:7], 3
	s_load_b64 s[0:1], s[0:1], 0x20
	s_add_nc_u64 s[2:3], s[10:11], s[2:3]
	s_load_b64 s[2:3], s[2:3], 0x0
	s_delay_alu instid0(VALU_DEP_1) | instskip(NEXT) | instid1(VALU_DEP_1)
	v_sub_nc_u32_e32 v5, v1, v2
	v_lshrrev_b32_e32 v5, 1, v5
	s_delay_alu instid0(VALU_DEP_1) | instskip(SKIP_3) | instid1(VALU_DEP_3)
	v_add_nc_u32_e32 v2, v5, v2
	v_mul_hi_u32 v5, 0x7878788, v0
	s_wait_kmcnt 0x0
	v_cmp_gt_u64_e32 vcc_lo, s[0:1], v[9:10]
	v_lshrrev_b32_e32 v2, 2, v2
	v_mul_lo_u32 v7, s2, v10
	v_mul_lo_u32 v8, s3, v9
	s_delay_alu instid0(VALU_DEP_3) | instskip(SKIP_2) | instid1(VALU_DEP_1)
	v_mul_lo_u32 v6, v2, 7
	v_mad_co_u64_u32 v[2:3], null, s2, v9, v[3:4]
	v_mul_u32_u24_e32 v4, 34, v5
	v_sub_nc_u32_e32 v36, v0, v4
	s_delay_alu instid0(VALU_DEP_4) | instskip(NEXT) | instid1(VALU_DEP_4)
	v_sub_nc_u32_e32 v1, v1, v6
	v_add3_u32 v3, v8, v3, v7
	s_delay_alu instid0(VALU_DEP_3) | instskip(NEXT) | instid1(VALU_DEP_3)
	v_lshlrev_b32_e32 v43, 3, v36
	v_mul_u32_u24_e32 v1, 0x1ff, v1
	s_delay_alu instid0(VALU_DEP_3) | instskip(NEXT) | instid1(VALU_DEP_2)
	v_lshlrev_b64_e32 v[38:39], 3, v[2:3]
	v_lshlrev_b32_e32 v45, 3, v1
	s_and_saveexec_b32 s1, vcc_lo
	s_cbranch_execz .LBB0_10
; %bb.9:
	v_mov_b32_e32 v37, 0
	s_delay_alu instid0(VALU_DEP_3) | instskip(SKIP_2) | instid1(VALU_DEP_3)
	v_add_co_u32 v2, s0, s8, v38
	s_wait_alu 0xf1ff
	v_add_co_ci_u32_e64 v3, s0, s9, v39, s0
	v_lshlrev_b64_e32 v[0:1], 3, v[36:37]
	v_add3_u32 v30, 0, v45, v43
	s_delay_alu instid0(VALU_DEP_1) | instskip(NEXT) | instid1(VALU_DEP_3)
	v_add_nc_u32_e32 v31, 0x800, v30
	v_add_co_u32 v0, s0, v2, v0
	s_wait_alu 0xf1ff
	s_delay_alu instid0(VALU_DEP_4)
	v_add_co_ci_u32_e64 v1, s0, v3, v1, s0
	s_clause 0xe
	global_load_b64 v[2:3], v[0:1], off
	global_load_b64 v[4:5], v[0:1], off offset:272
	global_load_b64 v[6:7], v[0:1], off offset:544
	;; [unrolled: 1-line block ×14, first 2 shown]
	s_wait_loadcnt 0xd
	ds_store_2addr_b64 v30, v[2:3], v[4:5] offset1:34
	s_wait_loadcnt 0xb
	ds_store_2addr_b64 v30, v[6:7], v[8:9] offset0:68 offset1:102
	s_wait_loadcnt 0x9
	ds_store_2addr_b64 v30, v[10:11], v[12:13] offset0:136 offset1:170
	;; [unrolled: 2-line block ×6, first 2 shown]
	s_wait_loadcnt 0x0
	ds_store_b64 v30, v[0:1] offset:3808
.LBB0_10:
	s_wait_alu 0xfffe
	s_or_b32 exec_lo, exec_lo, s1
	v_add_nc_u32_e32 v0, 0, v43
	global_wb scope:SCOPE_SE
	s_wait_dscnt 0x0
	s_barrier_signal -1
	s_barrier_wait -1
	global_inv scope:SCOPE_SE
	v_add_nc_u32_e32 v44, v0, v45
	s_mov_b32 s1, exec_lo
	s_delay_alu instid0(VALU_DEP_1)
	v_add_nc_u32_e32 v46, 0x800, v44
	ds_load_2addr_b64 v[32:35], v44 offset0:30 offset1:60
	ds_load_2addr_b64 v[4:7], v46 offset0:194 offset1:224
	s_wait_dscnt 0x0
	v_dual_sub_f32 v68, v32, v6 :: v_dual_add_nc_u32 v37, 0, v45
	v_add_f32_e32 v51, v7, v33
	v_sub_f32_e32 v63, v33, v7
	ds_load_2addr_b64 v[28:31], v44 offset0:90 offset1:120
	ds_load_2addr_b64 v[8:11], v46 offset0:134 offset1:164
	v_dual_sub_f32 v65, v34, v4 :: v_dual_add_nc_u32 v42, v37, v43
	ds_load_2addr_b64 v[24:27], v44 offset0:150 offset1:180
	ds_load_2addr_b64 v[12:15], v46 offset0:74 offset1:104
	ds_load_b64 v[40:41], v42
	ds_load_2addr_b64 v[20:23], v44 offset0:210 offset1:240
	ds_load_2addr_b64 v[16:19], v46 offset0:14 offset1:44
	v_dual_sub_f32 v64, v35, v5 :: v_dual_add_f32 v47, v6, v32
	v_dual_add_f32 v48, v4, v34 :: v_dual_add_f32 v49, v5, v35
	v_mul_f32_e32 v88, 0xbf7ee86f, v65
	v_mul_f32_e32 v116, 0xbf65296c, v68
	;; [unrolled: 1-line block ×3, first 2 shown]
	global_wb scope:SCOPE_SE
	s_wait_dscnt 0x0
	s_barrier_signal -1
	s_barrier_wait -1
	v_fma_f32 v94, 0x3ee437d1, v51, -v116
	v_fma_f32 v97, 0xbf1a4643, v49, -v114
	v_mul_f32_e32 v87, 0xbf2c7751, v63
	v_mul_f32_e32 v89, 0xbf2c7751, v68
	global_inv scope:SCOPE_SE
	v_dual_sub_f32 v67, v28, v10 :: v_dual_add_f32 v52, v11, v29
	v_dual_add_f32 v55, v14, v24 :: v_dual_add_f32 v54, v9, v31
	v_add_f32_e32 v56, v15, v25
	s_delay_alu instid0(VALU_DEP_3) | instskip(SKIP_3) | instid1(VALU_DEP_4)
	v_dual_sub_f32 v72, v24, v14 :: v_dual_mul_f32 v85, 0xbf4c4adb, v67
	v_dual_sub_f32 v66, v29, v11 :: v_dual_sub_f32 v69, v31, v9
	v_fma_f32 v1, 0x3f3d2fb0, v51, -v89
	v_mul_f32_e32 v86, 0xbf7ee86f, v64
	v_fma_f32 v58, 0xbf1a4643, v52, -v85
	v_fmamk_f32 v0, v47, 0x3f3d2fb0, v87
	v_dual_add_f32 v50, v10, v28 :: v_dual_add_f32 v53, v8, v30
	v_dual_sub_f32 v70, v30, v8 :: v_dual_sub_f32 v71, v25, v15
	s_delay_alu instid0(VALU_DEP_3) | instskip(SKIP_2) | instid1(VALU_DEP_4)
	v_dual_mul_f32 v83, 0xbf4c4adb, v66 :: v_dual_add_f32 v0, v40, v0
	v_dual_add_f32 v1, v41, v1 :: v_dual_fmamk_f32 v2, v48, 0x3dbcf732, v86
	v_sub_f32_e32 v73, v27, v13
	v_mul_f32_e32 v81, 0x3f06c442, v71
	s_delay_alu instid0(VALU_DEP_4) | instskip(SKIP_4) | instid1(VALU_DEP_3)
	v_fmamk_f32 v57, v50, 0xbf1a4643, v83
	v_dual_mul_f32 v80, 0xbe3c28d5, v69 :: v_dual_sub_f32 v75, v26, v12
	v_add_f32_e32 v0, v2, v0
	v_dual_mul_f32 v108, 0x3e3c28d5, v66 :: v_dual_mul_f32 v115, 0x3e3c28d5, v67
	v_dual_add_f32 v94, v41, v94 :: v_dual_mul_f32 v105, 0x3f2c7751, v71
	v_dual_add_f32 v0, v57, v0 :: v_dual_mul_f32 v93, 0x3f763a35, v75
	v_add_f32_e32 v57, v12, v26
	v_fma_f32 v3, 0x3dbcf732, v49, -v88
	v_mul_f32_e32 v82, 0xbe3c28d5, v70
	v_dual_add_f32 v94, v97, v94 :: v_dual_mul_f32 v111, 0xbeb8f4ab, v75
	v_fma_f32 v97, 0xbf7ba420, v52, -v115
	s_delay_alu instid0(VALU_DEP_4) | instskip(NEXT) | instid1(VALU_DEP_4)
	v_add_f32_e32 v1, v3, v1
	v_fma_f32 v3, 0xbf7ba420, v54, -v82
	v_mul_f32_e32 v113, 0x3f763a35, v70
	v_mul_f32_e32 v112, 0x3f2c7751, v72
	s_delay_alu instid0(VALU_DEP_4) | instskip(SKIP_3) | instid1(VALU_DEP_4)
	v_dual_add_f32 v94, v97, v94 :: v_dual_add_f32 v1, v58, v1
	v_mul_f32_e32 v84, 0x3f06c442, v72
	v_dual_fmamk_f32 v58, v55, 0xbf59a7d5, v81 :: v_dual_sub_f32 v77, v20, v18
	v_fma_f32 v97, 0xbe8c1d8e, v54, -v113
	v_add_f32_e32 v1, v3, v1
	s_delay_alu instid0(VALU_DEP_4) | instskip(SKIP_2) | instid1(VALU_DEP_3)
	v_fma_f32 v59, 0xbf59a7d5, v56, -v84
	v_fmamk_f32 v2, v53, 0xbf7ba420, v80
	v_dual_sub_f32 v76, v21, v19 :: v_dual_add_f32 v61, v16, v22
	v_dual_add_f32 v94, v97, v94 :: v_dual_add_f32 v1, v59, v1
	s_delay_alu instid0(VALU_DEP_3) | instskip(SKIP_1) | instid1(VALU_DEP_4)
	v_add_f32_e32 v0, v2, v0
	v_fma_f32 v97, 0x3f3d2fb0, v56, -v112
	v_dual_mul_f32 v91, 0x3f65296c, v76 :: v_dual_add_f32 v60, v19, v21
	v_sub_f32_e32 v78, v22, v16
	s_delay_alu instid0(VALU_DEP_4) | instskip(SKIP_4) | instid1(VALU_DEP_4)
	v_add_f32_e32 v0, v58, v0
	v_add_f32_e32 v58, v13, v27
	;; [unrolled: 1-line block ×3, first 2 shown]
	v_mul_f32_e32 v110, 0xbf7ee86f, v77
	v_dual_add_f32 v62, v17, v23 :: v_dual_mul_f32 v109, 0xbf4c4adb, v64
	v_fma_f32 v97, 0x3f6eb680, v58, -v111
	v_mul_f32_e32 v106, 0xbf06c442, v78
	v_fma_f32 v3, 0xbe8c1d8e, v58, -v93
	v_dual_mul_f32 v90, 0x3f763a35, v73 :: v_dual_add_f32 v59, v18, v20
	s_delay_alu instid0(VALU_DEP_4) | instskip(SKIP_1) | instid1(VALU_DEP_4)
	v_add_f32_e32 v94, v97, v94
	v_fma_f32 v97, 0x3dbcf732, v60, -v110
	v_add_f32_e32 v1, v3, v1
	v_dual_sub_f32 v74, v23, v17 :: v_dual_mul_f32 v95, 0x3eb8f4ab, v78
	s_delay_alu instid0(VALU_DEP_3) | instskip(SKIP_2) | instid1(VALU_DEP_4)
	v_dual_mul_f32 v101, 0xbf65296c, v63 :: v_dual_add_f32 v94, v97, v94
	v_fma_f32 v97, 0xbf59a7d5, v62, -v106
	v_mul_f32_e32 v92, 0x3f65296c, v77
	v_fma_f32 v98, 0x3f6eb680, v62, -v95
	v_fmamk_f32 v96, v48, 0xbf1a4643, v109
	v_mul_f32_e32 v102, 0xbf06c442, v74
	v_mul_f32_e32 v104, 0xbeb8f4ab, v73
	v_fma_f32 v3, 0x3ee437d1, v60, -v92
	v_mul_f32_e32 v79, 0x3eb8f4ab, v74
	v_mul_f32_e32 v107, 0x3f763a35, v69
	v_mul_f32_e32 v103, 0xbf7ee86f, v76
	v_fmamk_f32 v99, v61, 0xbf59a7d5, v102
	v_dual_add_f32 v1, v3, v1 :: v_dual_fmamk_f32 v2, v57, 0xbe8c1d8e, v90
	s_delay_alu instid0(VALU_DEP_1) | instskip(SKIP_1) | instid1(VALU_DEP_1)
	v_dual_fmamk_f32 v3, v61, 0x3f6eb680, v79 :: v_dual_add_f32 v0, v2, v0
	v_fmamk_f32 v2, v59, 0x3ee437d1, v91
	v_add_f32_e32 v0, v2, v0
	v_fmamk_f32 v2, v47, 0x3ee437d1, v101
	s_delay_alu instid0(VALU_DEP_1) | instskip(NEXT) | instid1(VALU_DEP_1)
	v_add_f32_e32 v2, v40, v2
	v_add_f32_e32 v2, v96, v2
	v_fmamk_f32 v96, v50, 0xbf7ba420, v108
	s_delay_alu instid0(VALU_DEP_1) | instskip(SKIP_1) | instid1(VALU_DEP_1)
	v_add_f32_e32 v2, v96, v2
	v_fmamk_f32 v96, v53, 0xbe8c1d8e, v107
	v_add_f32_e32 v2, v96, v2
	v_fmamk_f32 v96, v55, 0x3f3d2fb0, v105
	s_delay_alu instid0(VALU_DEP_1) | instskip(SKIP_1) | instid1(VALU_DEP_1)
	v_add_f32_e32 v2, v96, v2
	v_fmamk_f32 v96, v57, 0x3f6eb680, v104
	v_add_f32_e32 v2, v96, v2
	v_fmamk_f32 v96, v59, 0x3dbcf732, v103
	s_delay_alu instid0(VALU_DEP_1) | instskip(SKIP_1) | instid1(VALU_DEP_2)
	v_add_f32_e32 v96, v96, v2
	v_dual_add_f32 v2, v3, v0 :: v_dual_add_f32 v3, v98, v1
	v_dual_add_f32 v1, v97, v94 :: v_dual_add_f32 v0, v99, v96
	v_cmpx_gt_u32_e32 30, v36
	s_cbranch_execz .LBB0_12
; %bb.11:
	v_dual_mul_f32 v98, 0x3eb8f4ab, v65 :: v_dual_add_f32 v121, v40, v32
	v_dual_mul_f32 v97, 0xbf06c442, v67 :: v_dual_add_f32 v120, v41, v33
	v_dual_mul_f32 v99, 0xbe3c28d5, v68 :: v_dual_mul_f32 v100, 0xbe3c28d5, v63
	s_delay_alu instid0(VALU_DEP_3) | instskip(NEXT) | instid1(VALU_DEP_4)
	v_fmamk_f32 v118, v49, 0x3f6eb680, v98
	v_dual_mul_f32 v119, 0x3eb8f4ab, v64 :: v_dual_add_f32 v34, v121, v34
	s_delay_alu instid0(VALU_DEP_4) | instskip(SKIP_2) | instid1(VALU_DEP_4)
	v_add_f32_e32 v35, v120, v35
	v_fmamk_f32 v122, v52, 0xbf59a7d5, v97
	v_mul_f32_e32 v134, 0x3f763a35, v65
	v_fma_f32 v121, 0x3f6eb680, v48, -v119
	s_delay_alu instid0(VALU_DEP_4) | instskip(SKIP_3) | instid1(VALU_DEP_4)
	v_dual_add_f32 v34, v34, v28 :: v_dual_add_f32 v29, v35, v29
	v_fmamk_f32 v117, v51, 0xbf7ba420, v99
	v_mul_f32_e32 v96, 0x3f2c7751, v70
	v_mul_f32_e32 v145, 0x3f7ee86f, v72
	v_dual_mul_f32 v138, 0xbf06c442, v69 :: v_dual_add_f32 v31, v29, v31
	s_delay_alu instid0(VALU_DEP_4) | instskip(NEXT) | instid1(VALU_DEP_4)
	v_dual_add_f32 v117, v41, v117 :: v_dual_mul_f32 v94, 0xbf4c4adb, v72
	v_fmamk_f32 v120, v54, 0x3f3d2fb0, v96
	v_mul_f32_e32 v29, 0x3f65296c, v73
	s_delay_alu instid0(VALU_DEP_3) | instskip(NEXT) | instid1(VALU_DEP_4)
	v_dual_mul_f32 v148, 0xbf2c7751, v75 :: v_dual_add_f32 v123, v118, v117
	v_fmamk_f32 v124, v56, 0xbf1a4643, v94
	v_mul_f32_e32 v156, 0xbf763a35, v63
	v_mul_f32_e32 v141, 0x3f2c7751, v67
	;; [unrolled: 1-line block ×3, first 2 shown]
	v_add_f32_e32 v122, v122, v123
	v_fma_f32 v123, 0xbf7ba420, v47, -v100
	v_mul_f32_e32 v33, 0x3f65296c, v75
	v_mul_f32_e32 v117, 0xbf06c442, v66
	;; [unrolled: 1-line block ×3, first 2 shown]
	v_add_f32_e32 v120, v120, v122
	v_add_f32_e32 v122, v40, v123
	v_mul_f32_e32 v32, 0xbf763a35, v77
	v_add_f32_e32 v31, v31, v25
	s_delay_alu instid0(VALU_DEP_4) | instskip(NEXT) | instid1(VALU_DEP_3)
	v_dual_fmamk_f32 v123, v58, 0x3ee437d1, v33 :: v_dual_add_f32 v120, v124, v120
	v_dual_add_f32 v121, v121, v122 :: v_dual_fmamk_f32 v126, v60, 0xbe8c1d8e, v32
	v_mul_f32_e32 v118, 0x3f2c7751, v69
	v_fma_f32 v125, 0xbf59a7d5, v50, -v117
	s_delay_alu instid0(VALU_DEP_4) | instskip(SKIP_1) | instid1(VALU_DEP_4)
	v_dual_add_f32 v35, v123, v120 :: v_dual_add_f32 v30, v34, v30
	v_add_f32_e32 v27, v31, v27
	v_fma_f32 v122, 0x3f3d2fb0, v53, -v118
	s_delay_alu instid0(VALU_DEP_4) | instskip(NEXT) | instid1(VALU_DEP_3)
	v_dual_add_f32 v120, v125, v121 :: v_dual_mul_f32 v25, 0x3f7ee86f, v78
	v_dual_mul_f32 v28, 0xbf4c4adb, v71 :: v_dual_add_f32 v21, v27, v21
	v_dual_add_f32 v24, v30, v24 :: v_dual_mul_f32 v121, 0x3f65296c, v65
	v_add_f32_e32 v34, v126, v35
	s_delay_alu instid0(VALU_DEP_4) | instskip(NEXT) | instid1(VALU_DEP_4)
	v_add_f32_e32 v35, v122, v120
	v_fma_f32 v120, 0xbf1a4643, v55, -v28
	s_delay_alu instid0(VALU_DEP_4) | instskip(SKIP_2) | instid1(VALU_DEP_4)
	v_dual_add_f32 v24, v24, v26 :: v_dual_add_f32 v21, v21, v23
	v_fmamk_f32 v31, v62, 0x3dbcf732, v25
	v_mul_f32_e32 v26, 0xbf763a35, v76
	v_add_f32_e32 v30, v120, v35
	s_delay_alu instid0(VALU_DEP_4) | instskip(SKIP_3) | instid1(VALU_DEP_4)
	v_dual_mul_f32 v120, 0xbf06c442, v68 :: v_dual_add_f32 v17, v21, v17
	v_add_f32_e32 v20, v24, v20
	v_fma_f32 v35, 0x3ee437d1, v57, -v29
	v_fma_f32 v23, 0xbe8c1d8e, v59, -v26
	v_fmamk_f32 v27, v51, 0xbf59a7d5, v120
	s_delay_alu instid0(VALU_DEP_4) | instskip(NEXT) | instid1(VALU_DEP_4)
	v_dual_add_f32 v17, v17, v19 :: v_dual_add_f32 v22, v20, v22
	v_add_f32_e32 v30, v35, v30
	v_add_f32_e32 v20, v31, v34
	s_delay_alu instid0(VALU_DEP_4) | instskip(NEXT) | instid1(VALU_DEP_4)
	v_add_f32_e32 v24, v41, v27
	v_add_f32_e32 v13, v17, v13
	v_fmamk_f32 v27, v49, 0x3ee437d1, v121
	v_mul_f32_e32 v122, 0xbf7ee86f, v67
	v_add_f32_e32 v34, v23, v30
	s_delay_alu instid0(VALU_DEP_4) | instskip(NEXT) | instid1(VALU_DEP_3)
	v_dual_add_f32 v16, v22, v16 :: v_dual_add_f32 v13, v13, v15
	v_dual_add_f32 v23, v27, v24 :: v_dual_fmamk_f32 v24, v52, 0x3dbcf732, v122
	v_mul_f32_e32 v124, 0x3f4c4adb, v70
	s_delay_alu instid0(VALU_DEP_3) | instskip(NEXT) | instid1(VALU_DEP_4)
	v_dual_add_f32 v16, v16, v18 :: v_dual_mul_f32 v131, 0xbeb8f4ab, v72
	v_add_f32_e32 v9, v13, v9
	s_delay_alu instid0(VALU_DEP_4) | instskip(NEXT) | instid1(VALU_DEP_3)
	v_add_f32_e32 v21, v24, v23
	v_dual_mul_f32 v27, 0x3f7ee86f, v74 :: v_dual_add_f32 v12, v16, v12
	v_mul_f32_e32 v125, 0xbe3c28d5, v75
	s_delay_alu instid0(VALU_DEP_4) | instskip(SKIP_1) | instid1(VALU_DEP_4)
	v_dual_fmamk_f32 v16, v54, 0xbf1a4643, v124 :: v_dual_add_f32 v9, v9, v11
	v_mul_f32_e32 v30, 0xbf06c442, v63
	v_dual_mul_f32 v23, 0x3f65296c, v64 :: v_dual_add_f32 v12, v12, v14
	s_delay_alu instid0(VALU_DEP_3) | instskip(SKIP_1) | instid1(VALU_DEP_4)
	v_add_f32_e32 v15, v16, v21
	v_fma_f32 v14, 0x3dbcf732, v61, -v27
	v_fma_f32 v18, 0xbf59a7d5, v47, -v30
	s_delay_alu instid0(VALU_DEP_4) | instskip(SKIP_1) | instid1(VALU_DEP_4)
	v_dual_fmamk_f32 v13, v58, 0xbf7ba420, v125 :: v_dual_add_f32 v8, v12, v8
	v_mul_f32_e32 v21, 0x3f4c4adb, v69
	v_add_f32_e32 v19, v14, v34
	s_delay_alu instid0(VALU_DEP_4) | instskip(SKIP_4) | instid1(VALU_DEP_4)
	v_add_f32_e32 v17, v40, v18
	v_fma_f32 v18, 0x3ee437d1, v48, -v23
	v_dual_add_f32 v8, v8, v10 :: v_dual_add_f32 v5, v9, v5
	v_fma_f32 v10, 0xbf1a4643, v53, -v21
	v_mul_f32_e32 v31, 0x3f2c7751, v77
	v_add_f32_e32 v16, v18, v17
	v_fmamk_f32 v18, v56, 0x3f6eb680, v131
	v_dual_mul_f32 v24, 0xbf7ee86f, v66 :: v_dual_add_f32 v5, v5, v7
	v_fmamk_f32 v14, v56, 0x3dbcf732, v145
	s_delay_alu instid0(VALU_DEP_3) | instskip(NEXT) | instid1(VALU_DEP_3)
	v_dual_mul_f32 v144, 0xbf06c442, v70 :: v_dual_add_f32 v11, v18, v15
	v_fma_f32 v17, 0x3dbcf732, v50, -v24
	v_mul_f32_e32 v127, 0xbf4c4adb, v68
	v_dual_add_f32 v4, v8, v4 :: v_dual_mul_f32 v123, 0xbf2c7751, v73
	s_delay_alu instid0(VALU_DEP_4) | instskip(NEXT) | instid1(VALU_DEP_4)
	v_add_f32_e32 v11, v13, v11
	v_dual_add_f32 v12, v17, v16 :: v_dual_mul_f32 v17, 0xbeb8f4ab, v71
	v_mul_f32_e32 v16, 0xbe3c28d5, v73
	v_fmamk_f32 v13, v60, 0x3f3d2fb0, v31
	v_mul_f32_e32 v18, 0x3f2c7751, v76
	s_delay_alu instid0(VALU_DEP_4) | instskip(SKIP_4) | instid1(VALU_DEP_4)
	v_add_f32_e32 v10, v10, v12
	v_fma_f32 v12, 0x3f6eb680, v55, -v17
	v_fmamk_f32 v7, v51, 0xbf1a4643, v127
	v_mul_f32_e32 v34, 0xbf763a35, v78
	v_dual_add_f32 v4, v4, v6 :: v_dual_add_f32 v9, v13, v11
	v_dual_fmamk_f32 v11, v49, 0xbe8c1d8e, v134 :: v_dual_add_f32 v10, v12, v10
	v_fma_f32 v12, 0xbf7ba420, v57, -v16
	v_fma_f32 v6, 0x3f3d2fb0, v59, -v18
	v_mul_f32_e32 v135, 0xbf4c4adb, v63
	v_dual_add_f32 v7, v41, v7 :: v_dual_mul_f32 v22, 0xbf763a35, v74
	s_delay_alu instid0(VALU_DEP_4) | instskip(SKIP_1) | instid1(VALU_DEP_3)
	v_dual_add_f32 v8, v12, v10 :: v_dual_mul_f32 v143, 0xbeb8f4ab, v67
	v_mul_f32_e32 v137, 0xbeb8f4ab, v66
	v_add_f32_e32 v7, v11, v7
	s_delay_alu instid0(VALU_DEP_4) | instskip(NEXT) | instid1(VALU_DEP_4)
	v_fma_f32 v13, 0xbe8c1d8e, v61, -v22
	v_add_f32_e32 v6, v6, v8
	v_fma_f32 v8, 0xbf1a4643, v47, -v135
	v_fmamk_f32 v11, v52, 0x3f6eb680, v143
	v_dual_mul_f32 v160, 0xbf7ee86f, v68 :: v_dual_mul_f32 v163, 0xbf7ee86f, v63
	s_delay_alu instid0(VALU_DEP_4) | instskip(NEXT) | instid1(VALU_DEP_3)
	v_add_f32_e32 v6, v13, v6
	v_dual_add_f32 v8, v40, v8 :: v_dual_add_f32 v7, v11, v7
	v_fmamk_f32 v11, v54, 0xbf59a7d5, v144
	v_fmamk_f32 v10, v62, 0xbe8c1d8e, v34
	v_mul_f32_e32 v136, 0x3f763a35, v64
	v_mul_f32_e32 v139, 0x3f7ee86f, v71
	v_fma_f32 v13, 0xbe8c1d8e, v47, -v156
	v_add_f32_e32 v11, v11, v7
	v_add_f32_e32 v7, v10, v9
	v_fma_f32 v12, 0xbe8c1d8e, v48, -v136
	v_fma_f32 v10, 0x3dbcf732, v55, -v139
	s_delay_alu instid0(VALU_DEP_4) | instskip(NEXT) | instid1(VALU_DEP_3)
	v_dual_mul_f32 v126, 0xbf65296c, v70 :: v_dual_add_f32 v9, v14, v11
	v_dual_fmamk_f32 v11, v58, 0x3f3d2fb0, v148 :: v_dual_add_f32 v8, v12, v8
	v_fma_f32 v12, 0x3f6eb680, v50, -v137
	v_fma_f32 v14, 0xbf59a7d5, v48, -v130
	v_dual_mul_f32 v128, 0xbe3c28d5, v72 :: v_dual_mul_f32 v161, 0xbe3c28d5, v65
	s_delay_alu instid0(VALU_DEP_3) | instskip(SKIP_4) | instid1(VALU_DEP_4)
	v_dual_add_f32 v9, v11, v9 :: v_dual_add_f32 v8, v12, v8
	v_fma_f32 v12, 0xbf59a7d5, v53, -v138
	v_add_f32_e32 v13, v40, v13
	v_fma_f32 v147, 0x3dbcf732, v47, -v163
	v_dual_mul_f32 v157, 0xbeb8f4ab, v77 :: v_dual_mul_f32 v154, 0xbeb8f4ab, v76
	v_dual_add_f32 v8, v12, v8 :: v_dual_mul_f32 v149, 0xbe3c28d5, v77
	v_mul_f32_e32 v132, 0x3f65296c, v74
	s_delay_alu instid0(VALU_DEP_4) | instskip(NEXT) | instid1(VALU_DEP_3)
	v_dual_fmamk_f32 v15, v49, 0xbf7ba420, v161 :: v_dual_add_f32 v158, v40, v147
	v_add_f32_e32 v8, v10, v8
	v_fma_f32 v10, 0x3f3d2fb0, v57, -v123
	v_fmamk_f32 v11, v60, 0xbf7ba420, v149
	v_mul_f32_e32 v169, 0xbf1a4643, v49
	v_dual_mul_f32 v140, 0xbf65296c, v69 :: v_dual_mul_f32 v165, 0xbf65296c, v72
	s_delay_alu instid0(VALU_DEP_4) | instskip(NEXT) | instid1(VALU_DEP_4)
	v_add_f32_e32 v8, v10, v8
	v_dual_mul_f32 v150, 0xbf763a35, v68 :: v_dual_add_f32 v9, v11, v9
	v_mul_f32_e32 v151, 0x3f65296c, v78
	v_dual_add_f32 v13, v14, v13 :: v_dual_mul_f32 v164, 0x3eb8f4ab, v70
	s_delay_alu instid0(VALU_DEP_3) | instskip(SKIP_1) | instid1(VALU_DEP_4)
	v_fmamk_f32 v12, v51, 0xbe8c1d8e, v150
	v_dual_add_f32 v114, v114, v169 :: v_dual_mul_f32 v169, 0xbf7ba420, v52
	v_fmamk_f32 v11, v62, 0x3ee437d1, v151
	v_mul_f32_e32 v146, 0xbe3c28d5, v64
	v_dual_mul_f32 v162, 0x3f763a35, v67 :: v_dual_mul_f32 v147, 0x3f763a35, v66
	s_delay_alu instid0(VALU_DEP_4) | instskip(NEXT) | instid1(VALU_DEP_4)
	v_add_f32_e32 v115, v115, v169
	v_add_f32_e32 v9, v11, v9
	v_fmamk_f32 v11, v52, 0x3f3d2fb0, v141
	v_mul_f32_e32 v35, 0xbe3c28d5, v76
	v_fma_f32 v168, 0xbf7ba420, v48, -v146
	v_mul_f32_e32 v142, 0xbe3c28d5, v71
	v_mul_f32_e32 v159, 0xbf4c4adb, v78
	;; [unrolled: 1-line block ×3, first 2 shown]
	v_fma_f32 v10, 0xbf7ba420, v59, -v35
	v_mul_f32_e32 v166, 0xbf06c442, v75
	v_mul_f32_e32 v67, 0xbf65296c, v67
	;; [unrolled: 1-line block ×3, first 2 shown]
	v_fma_f32 v33, 0x3ee437d1, v58, -v33
	v_add_f32_e32 v8, v10, v8
	v_add_f32_e32 v10, v41, v12
	v_fmamk_f32 v12, v49, 0xbf59a7d5, v152
	v_mul_f32_e32 v153, 0x3f7ee86f, v73
	v_fmac_f32_e32 v100, 0xbf7ba420, v47
	v_fmac_f32_e32 v28, 0xbf1a4643, v55
	v_fma_f32 v32, 0xbe8c1d8e, v60, -v32
	v_add_f32_e32 v10, v12, v10
	v_fma_f32 v12, 0x3ee437d1, v61, -v132
	v_mul_f32_e32 v133, 0x3f2c7751, v66
	v_fmac_f32_e32 v30, 0xbf59a7d5, v47
	v_fma_f32 v25, 0x3dbcf732, v62, -v25
	v_mul_f32_e32 v169, 0xbf1a4643, v48
	v_add_f32_e32 v8, v12, v8
	v_fma_f32 v14, 0x3f3d2fb0, v50, -v133
	v_add_f32_e32 v30, v40, v30
	v_fmac_f32_e32 v133, 0x3f3d2fb0, v50
	v_fmac_f32_e32 v132, 0x3ee437d1, v61
	v_sub_f32_e32 v109, v169, v109
	v_add_f32_e32 v12, v14, v13
	v_dual_add_f32 v10, v11, v10 :: v_dual_fmamk_f32 v11, v54, 0x3ee437d1, v126
	v_fmamk_f32 v14, v60, 0x3f6eb680, v157
	v_fma_f32 v13, 0x3ee437d1, v53, -v140
	v_mul_f32_e32 v68, 0xbeb8f4ab, v68
	v_mul_f32_e32 v70, 0xbf7ee86f, v70
	v_dual_add_f32 v10, v11, v10 :: v_dual_fmamk_f32 v11, v56, 0xbf7ba420, v128
	v_mul_f32_e32 v129, 0x3f7ee86f, v75
	v_fmac_f32_e32 v29, 0x3ee437d1, v57
	v_fmac_f32_e32 v27, 0x3dbcf732, v61
	;; [unrolled: 1-line block ×3, first 2 shown]
	s_delay_alu instid0(VALU_DEP_4)
	v_dual_add_f32 v10, v11, v10 :: v_dual_fmamk_f32 v11, v58, 0x3dbcf732, v129
	v_fmac_f32_e32 v23, 0x3ee437d1, v48
	v_fmac_f32_e32 v21, 0xbf1a4643, v53
	;; [unrolled: 1-line block ×4, first 2 shown]
	v_dual_add_f32 v10, v11, v10 :: v_dual_add_f32 v11, v13, v12
	v_fma_f32 v12, 0xbf7ba420, v55, -v142
	v_add_f32_e32 v23, v23, v30
	v_fma_f32 v30, 0xbe8c1d8e, v49, -v134
	s_delay_alu instid0(VALU_DEP_4)
	v_add_f32_e32 v10, v14, v10
	v_fma_f32 v14, 0x3f6eb680, v59, -v154
	v_add_f32_e32 v11, v12, v11
	v_fma_f32 v12, 0x3dbcf732, v57, -v153
	v_dual_add_f32 v24, v24, v23 :: v_dual_fmac_f32 v137, 0x3f6eb680, v50
	v_fmac_f32_e32 v17, 0x3f6eb680, v55
	v_fmac_f32_e32 v35, 0xbf7ba420, v59
	s_delay_alu instid0(VALU_DEP_4) | instskip(SKIP_3) | instid1(VALU_DEP_4)
	v_add_f32_e32 v11, v12, v11
	v_fmamk_f32 v13, v51, 0x3dbcf732, v160
	v_add_f32_e32 v21, v21, v24
	v_fmac_f32_e32 v136, 0xbe8c1d8e, v48
	v_dual_fmac_f32 v153, 0x3dbcf732, v57 :: v_dual_add_f32 v14, v14, v11
	s_delay_alu instid0(VALU_DEP_4) | instskip(NEXT) | instid1(VALU_DEP_4)
	v_add_f32_e32 v13, v41, v13
	v_add_f32_e32 v17, v17, v21
	v_fmamk_f32 v11, v62, 0xbf1a4643, v159
	v_fmac_f32_e32 v156, 0xbe8c1d8e, v47
	v_fmac_f32_e32 v22, 0xbe8c1d8e, v61
	v_add_f32_e32 v12, v15, v13
	v_fma_f32 v15, 0xbf1a4643, v61, -v155
	v_fmamk_f32 v13, v52, 0xbe8c1d8e, v162
	v_dual_add_f32 v11, v11, v10 :: v_dual_fmac_f32 v130, 0xbf59a7d5, v48
	v_fmac_f32_e32 v154, 0x3f6eb680, v59
	s_delay_alu instid0(VALU_DEP_4) | instskip(NEXT) | instid1(VALU_DEP_4)
	v_add_f32_e32 v10, v15, v14
	v_dual_add_f32 v12, v13, v12 :: v_dual_fmamk_f32 v13, v54, 0x3f6eb680, v164
	v_mul_f32_e32 v14, 0x3ee437d1, v51
	v_fma_f32 v15, 0xbe8c1d8e, v50, -v147
	v_fmac_f32_e32 v163, 0x3dbcf732, v47
	v_fmac_f32_e32 v146, 0xbf7ba420, v48
	v_dual_add_f32 v12, v13, v12 :: v_dual_fmamk_f32 v13, v56, 0x3ee437d1, v165
	v_dual_add_f32 v14, v116, v14 :: v_dual_mul_f32 v167, 0x3f4c4adb, v77
	v_mul_f32_e32 v116, 0xbf65296c, v71
	s_delay_alu instid0(VALU_DEP_3) | instskip(NEXT) | instid1(VALU_DEP_3)
	v_dual_mul_f32 v71, 0xbf763a35, v71 :: v_dual_add_f32 v12, v13, v12
	v_dual_fmamk_f32 v13, v58, 0xbf59a7d5, v166 :: v_dual_add_f32 v14, v41, v14
	s_delay_alu instid0(VALU_DEP_1) | instskip(SKIP_1) | instid1(VALU_DEP_3)
	v_dual_fmac_f32 v147, 0xbe8c1d8e, v50 :: v_dual_add_f32 v12, v13, v12
	v_dual_add_f32 v13, v168, v158 :: v_dual_mul_f32 v158, 0x3eb8f4ab, v69
	v_add_f32_e32 v14, v114, v14
	v_fmac_f32_e32 v142, 0xbf7ba420, v55
	v_fmac_f32_e32 v140, 0x3ee437d1, v53
	s_delay_alu instid0(VALU_DEP_4) | instskip(SKIP_1) | instid1(VALU_DEP_1)
	v_add_f32_e32 v13, v15, v13
	v_fma_f32 v15, 0x3f6eb680, v53, -v158
	v_add_f32_e32 v13, v15, v13
	v_fma_f32 v15, 0x3ee437d1, v55, -v116
	s_delay_alu instid0(VALU_DEP_1) | instskip(NEXT) | instid1(VALU_DEP_1)
	v_dual_fmamk_f32 v168, v60, 0xbf1a4643, v167 :: v_dual_add_f32 v13, v15, v13
	v_add_f32_e32 v12, v168, v12
	v_mul_f32_e32 v168, 0x3ee437d1, v47
	v_mul_f32_e32 v15, 0xbe8c1d8e, v54
	s_delay_alu instid0(VALU_DEP_2) | instskip(NEXT) | instid1(VALU_DEP_2)
	v_dual_sub_f32 v101, v168, v101 :: v_dual_add_f32 v14, v115, v14
	v_add_f32_e32 v15, v113, v15
	s_delay_alu instid0(VALU_DEP_1) | instskip(SKIP_1) | instid1(VALU_DEP_1)
	v_dual_add_f32 v101, v40, v101 :: v_dual_add_f32 v14, v15, v14
	v_mul_f32_e32 v15, 0x3f3d2fb0, v56
	v_dual_mul_f32 v114, 0xbf06c442, v73 :: v_dual_add_f32 v15, v112, v15
	s_delay_alu instid0(VALU_DEP_3) | instskip(NEXT) | instid1(VALU_DEP_2)
	v_add_f32_e32 v109, v109, v101
	v_fma_f32 v115, 0xbf59a7d5, v57, -v114
	v_mul_f32_e32 v101, 0x3f4c4adb, v76
	v_mul_f32_e32 v112, 0x3f6eb680, v58
	v_add_f32_e32 v14, v15, v14
	v_mul_f32_e32 v113, 0xbf7ba420, v50
	v_add_f32_e32 v13, v115, v13
	s_delay_alu instid0(VALU_DEP_4) | instskip(NEXT) | instid1(VALU_DEP_3)
	v_add_f32_e32 v15, v111, v112
	v_dual_sub_f32 v108, v113, v108 :: v_dual_mul_f32 v113, 0xbe8c1d8e, v53
	s_delay_alu instid0(VALU_DEP_1) | instskip(SKIP_1) | instid1(VALU_DEP_2)
	v_dual_add_f32 v108, v108, v109 :: v_dual_sub_f32 v107, v113, v107
	v_fma_f32 v109, 0xbf1a4643, v59, -v101
	v_add_f32_e32 v107, v107, v108
	s_delay_alu instid0(VALU_DEP_2) | instskip(NEXT) | instid1(VALU_DEP_1)
	v_dual_mul_f32 v108, 0x3dbcf732, v60 :: v_dual_add_f32 v109, v109, v13
	v_dual_add_f32 v13, v15, v14 :: v_dual_add_f32 v14, v110, v108
	v_mul_f32_e32 v108, 0x3dbcf732, v59
	s_delay_alu instid0(VALU_DEP_1) | instskip(NEXT) | instid1(VALU_DEP_3)
	v_dual_sub_f32 v103, v108, v103 :: v_dual_mul_f32 v108, 0xbf59a7d5, v61
	v_dual_add_f32 v14, v14, v13 :: v_dual_mul_f32 v13, 0xbf59a7d5, v62
	v_mul_f32_e32 v113, 0x3f3d2fb0, v55
	s_delay_alu instid0(VALU_DEP_3) | instskip(SKIP_1) | instid1(VALU_DEP_4)
	v_dual_fmac_f32 v101, 0xbf1a4643, v59 :: v_dual_sub_f32 v102, v108, v102
	v_mul_f32_e32 v111, 0x3f6eb680, v57
	v_add_f32_e32 v106, v106, v13
	s_delay_alu instid0(VALU_DEP_4) | instskip(NEXT) | instid1(VALU_DEP_1)
	v_sub_f32_e32 v105, v113, v105
	v_dual_mul_f32 v108, 0x3dbcf732, v49 :: v_dual_add_f32 v15, v105, v107
	s_delay_alu instid0(VALU_DEP_4) | instskip(NEXT) | instid1(VALU_DEP_2)
	v_sub_f32_e32 v107, v111, v104
	v_dual_mul_f32 v105, 0x3f2c7751, v78 :: v_dual_add_f32 v88, v88, v108
	s_delay_alu instid0(VALU_DEP_2) | instskip(NEXT) | instid1(VALU_DEP_1)
	v_dual_mul_f32 v104, 0x3f2c7751, v74 :: v_dual_add_f32 v15, v107, v15
	v_fma_f32 v110, 0x3f3d2fb0, v61, -v104
	s_delay_alu instid0(VALU_DEP_2) | instskip(SKIP_2) | instid1(VALU_DEP_3)
	v_dual_fmac_f32 v104, 0x3f3d2fb0, v61 :: v_dual_add_f32 v103, v103, v15
	v_dual_add_f32 v15, v106, v14 :: v_dual_mul_f32 v106, 0x3f3d2fb0, v47
	v_fmac_f32_e32 v158, 0x3f6eb680, v53
	v_add_f32_e32 v14, v102, v103
	s_delay_alu instid0(VALU_DEP_3) | instskip(NEXT) | instid1(VALU_DEP_1)
	v_dual_mul_f32 v102, 0x3dbcf732, v48 :: v_dual_sub_f32 v87, v106, v87
	v_dual_sub_f32 v86, v102, v86 :: v_dual_add_f32 v87, v40, v87
	v_dual_mul_f32 v103, 0xbf1a4643, v52 :: v_dual_mul_f32 v102, 0xbf1a4643, v50
	s_delay_alu instid0(VALU_DEP_2) | instskip(SKIP_1) | instid1(VALU_DEP_3)
	v_dual_add_f32 v86, v86, v87 :: v_dual_mul_f32 v87, 0xbf7ba420, v53
	v_fmamk_f32 v107, v62, 0x3f3d2fb0, v105
	v_sub_f32_e32 v83, v102, v83
	s_delay_alu instid0(VALU_DEP_3) | instskip(NEXT) | instid1(VALU_DEP_3)
	v_dual_add_f32 v85, v85, v103 :: v_dual_sub_f32 v80, v87, v80
	v_add_f32_e32 v13, v107, v12
	v_mul_f32_e32 v107, 0x3f3d2fb0, v51
	s_delay_alu instid0(VALU_DEP_4) | instskip(NEXT) | instid1(VALU_DEP_2)
	v_dual_add_f32 v83, v83, v86 :: v_dual_mul_f32 v86, 0xbf59a7d5, v55
	v_dual_add_f32 v12, v110, v109 :: v_dual_add_f32 v89, v89, v107
	s_delay_alu instid0(VALU_DEP_2) | instskip(SKIP_1) | instid1(VALU_DEP_3)
	v_dual_add_f32 v80, v80, v83 :: v_dual_sub_f32 v81, v86, v81
	v_mul_f32_e32 v83, 0xbe8c1d8e, v57
	v_dual_mul_f32 v86, 0xbf2c7751, v64 :: v_dual_add_f32 v89, v41, v89
	s_delay_alu instid0(VALU_DEP_2) | instskip(NEXT) | instid1(VALU_DEP_2)
	v_dual_add_f32 v80, v81, v80 :: v_dual_sub_f32 v81, v83, v90
	v_fma_f32 v87, 0x3f3d2fb0, v48, -v86
	s_delay_alu instid0(VALU_DEP_3) | instskip(SKIP_1) | instid1(VALU_DEP_2)
	v_dual_add_f32 v88, v88, v89 :: v_dual_mul_f32 v89, 0xbf7ba420, v54
	v_mul_f32_e32 v83, 0x3ee437d1, v59
	v_dual_add_f32 v85, v85, v88 :: v_dual_add_f32 v82, v82, v89
	v_mul_f32_e32 v88, 0xbf59a7d5, v56
	s_delay_alu instid0(VALU_DEP_2) | instskip(NEXT) | instid1(VALU_DEP_2)
	v_add_f32_e32 v82, v82, v85
	v_dual_add_f32 v84, v84, v88 :: v_dual_mul_f32 v85, 0xbe8c1d8e, v58
	v_mul_f32_e32 v88, 0xbf65296c, v66
	v_fmamk_f32 v66, v52, 0x3ee437d1, v67
	s_delay_alu instid0(VALU_DEP_3) | instskip(NEXT) | instid1(VALU_DEP_4)
	v_add_f32_e32 v82, v84, v82
	v_dual_add_f32 v84, v93, v85 :: v_dual_mul_f32 v85, 0x3ee437d1, v60
	s_delay_alu instid0(VALU_DEP_1) | instskip(NEXT) | instid1(VALU_DEP_2)
	v_add_f32_e32 v82, v84, v82
	v_dual_add_f32 v84, v92, v85 :: v_dual_mul_f32 v85, 0x3f6eb680, v62
	s_delay_alu instid0(VALU_DEP_1) | instskip(SKIP_2) | instid1(VALU_DEP_1)
	v_add_f32_e32 v82, v84, v82
	v_mul_f32_e32 v84, 0xbeb8f4ab, v63
	v_dual_add_f32 v80, v81, v80 :: v_dual_sub_f32 v81, v83, v91
	v_dual_add_f32 v63, v81, v80 :: v_dual_fmamk_f32 v80, v51, 0x3f6eb680, v68
	v_mul_f32_e32 v81, 0xbf2c7751, v65
	v_add_f32_e32 v83, v95, v85
	v_fma_f32 v85, 0x3f6eb680, v47, -v84
	v_fmac_f32_e32 v84, 0x3f6eb680, v47
	v_add_f32_e32 v64, v41, v80
	s_delay_alu instid0(VALU_DEP_3) | instskip(SKIP_1) | instid1(VALU_DEP_2)
	v_dual_fmamk_f32 v80, v49, 0x3f3d2fb0, v81 :: v_dual_add_f32 v85, v40, v85
	v_fmac_f32_e32 v86, 0x3f3d2fb0, v48
	v_add_f32_e32 v64, v80, v64
	s_delay_alu instid0(VALU_DEP_3) | instskip(SKIP_1) | instid1(VALU_DEP_3)
	v_add_f32_e32 v80, v87, v85
	v_fma_f32 v85, 0x3ee437d1, v50, -v88
	v_dual_mul_f32 v65, 0x3f6eb680, v61 :: v_dual_add_f32 v64, v66, v64
	v_fmamk_f32 v66, v54, 0x3dbcf732, v70
	s_delay_alu instid0(VALU_DEP_3) | instskip(NEXT) | instid1(VALU_DEP_2)
	v_dual_mul_f32 v69, 0xbf7ee86f, v69 :: v_dual_add_f32 v80, v85, v80
	v_dual_sub_f32 v65, v65, v79 :: v_dual_add_f32 v64, v66, v64
	s_delay_alu instid0(VALU_DEP_2)
	v_fma_f32 v85, 0x3dbcf732, v53, -v69
	v_fmamk_f32 v66, v56, 0xbe8c1d8e, v72
	v_mul_f32_e32 v75, 0xbf4c4adb, v75
	v_mul_f32_e32 v73, 0xbf4c4adb, v73
	v_add_f32_e32 v63, v65, v63
	v_add_f32_e32 v80, v85, v80
	v_add_f32_e32 v64, v66, v64
	v_fma_f32 v85, 0xbe8c1d8e, v55, -v71
	v_fmamk_f32 v66, v58, 0xbf1a4643, v75
	v_mul_f32_e32 v77, 0xbf06c442, v77
	v_fma_f32 v65, 0xbf7ba420, v51, -v99
	v_mul_f32_e32 v76, 0xbf06c442, v76
	v_add_f32_e32 v80, v85, v80
	v_fma_f32 v85, 0xbf1a4643, v57, -v73
	v_dual_add_f32 v66, v66, v64 :: v_dual_fmamk_f32 v79, v60, 0xbf59a7d5, v77
	v_dual_add_f32 v64, v83, v82 :: v_dual_add_f32 v65, v41, v65
	v_add_f32_e32 v83, v40, v100
	s_delay_alu instid0(VALU_DEP_3)
	v_dual_fmac_f32 v69, 0x3dbcf732, v53 :: v_dual_add_f32 v66, v79, v66
	v_fmac_f32_e32 v119, 0x3f6eb680, v48
	v_add_f32_e32 v80, v85, v80
	v_fma_f32 v85, 0xbf59a7d5, v59, -v76
	v_fmac_f32_e32 v71, 0xbe8c1d8e, v55
	v_fmac_f32_e32 v73, 0xbf1a4643, v57
	v_add_f32_e32 v83, v119, v83
	s_delay_alu instid0(VALU_DEP_4) | instskip(SKIP_4) | instid1(VALU_DEP_3)
	v_dual_fmac_f32 v76, 0xbf59a7d5, v59 :: v_dual_add_f32 v79, v85, v80
	v_fma_f32 v80, 0x3f6eb680, v49, -v98
	v_mul_f32_e32 v78, 0xbe3c28d5, v78
	v_mul_f32_e32 v74, 0xbe3c28d5, v74
	v_fma_f32 v85, 0x3f3d2fb0, v54, -v96
	v_dual_add_f32 v65, v80, v65 :: v_dual_fmamk_f32 v82, v62, 0xbf7ba420, v78
	v_fma_f32 v80, 0xbf59a7d5, v52, -v97
	v_fmac_f32_e32 v117, 0xbf59a7d5, v50
	s_delay_alu instid0(VALU_DEP_3) | instskip(NEXT) | instid1(VALU_DEP_3)
	v_add_f32_e32 v66, v82, v66
	v_add_f32_e32 v80, v80, v65
	v_fma_f32 v82, 0xbf7ba420, v61, -v74
	s_delay_alu instid0(VALU_DEP_1) | instskip(SKIP_4) | instid1(VALU_DEP_4)
	v_dual_add_f32 v80, v85, v80 :: v_dual_add_f32 v65, v82, v79
	v_fma_f32 v79, 0xbf59a7d5, v51, -v120
	v_add_f32_e32 v82, v117, v83
	v_fma_f32 v83, 0xbf1a4643, v56, -v94
	v_fma_f32 v85, 0x3ee437d1, v49, -v121
	v_dual_fmac_f32 v74, 0xbf7ba420, v61 :: v_dual_add_f32 v79, v41, v79
	v_fmac_f32_e32 v118, 0x3f3d2fb0, v53
	s_delay_alu instid0(VALU_DEP_4) | instskip(SKIP_1) | instid1(VALU_DEP_4)
	v_add_f32_e32 v80, v83, v80
	v_fma_f32 v83, 0x3dbcf732, v52, -v122
	v_add_f32_e32 v79, v85, v79
	s_delay_alu instid0(VALU_DEP_3) | instskip(SKIP_1) | instid1(VALU_DEP_2)
	v_dual_add_f32 v33, v33, v80 :: v_dual_add_f32 v82, v118, v82
	v_fma_f32 v80, 0xbf1a4643, v54, -v124
	v_dual_add_f32 v79, v83, v79 :: v_dual_add_f32 v28, v28, v82
	s_delay_alu instid0(VALU_DEP_1) | instskip(NEXT) | instid1(VALU_DEP_2)
	v_dual_add_f32 v28, v29, v28 :: v_dual_add_f32 v29, v32, v33
	v_add_f32_e32 v32, v80, v79
	v_fma_f32 v33, 0x3f6eb680, v56, -v131
	s_delay_alu instid0(VALU_DEP_3) | instskip(NEXT) | instid1(VALU_DEP_4)
	v_add_f32_e32 v28, v26, v28
	v_add_f32_e32 v26, v25, v29
	s_delay_alu instid0(VALU_DEP_3) | instskip(SKIP_1) | instid1(VALU_DEP_4)
	v_add_f32_e32 v29, v33, v32
	v_fma_f32 v32, 0xbf7ba420, v58, -v125
	v_add_f32_e32 v25, v27, v28
	v_fma_f32 v27, 0xbf1a4643, v51, -v127
	v_fma_f32 v33, 0xbf7ba420, v62, -v78
	s_delay_alu instid0(VALU_DEP_2) | instskip(SKIP_3) | instid1(VALU_DEP_4)
	v_dual_add_f32 v27, v41, v27 :: v_dual_add_f32 v28, v32, v29
	v_fma_f32 v29, 0x3f3d2fb0, v60, -v31
	v_fma_f32 v31, 0x3f3d2fb0, v62, -v105
	v_mul_u32_u24_e32 v32, 0x88, v36
	v_dual_add_f32 v27, v30, v27 :: v_dual_add_f32 v30, v40, v84
	s_delay_alu instid0(VALU_DEP_4) | instskip(SKIP_1) | instid1(VALU_DEP_1)
	v_add_f32_e32 v28, v29, v28
	v_fma_f32 v29, 0xbe8c1d8e, v62, -v34
	v_add_f32_e32 v23, v29, v28
	v_fma_f32 v28, 0x3f6eb680, v52, -v143
	v_add_f32_e32 v29, v40, v135
	s_delay_alu instid0(VALU_DEP_2) | instskip(SKIP_1) | instid1(VALU_DEP_3)
	v_add_f32_e32 v24, v28, v27
	v_fma_f32 v27, 0xbf59a7d5, v54, -v144
	v_add_f32_e32 v28, v136, v29
	v_fma_f32 v29, 0xbf59a7d5, v58, -v166
	s_delay_alu instid0(VALU_DEP_3)
	v_add_f32_e32 v21, v27, v24
	v_fma_f32 v24, 0x3dbcf732, v56, -v145
	v_fmac_f32_e32 v18, 0x3f3d2fb0, v59
	v_fmac_f32_e32 v139, 0x3dbcf732, v55
	v_dual_fmac_f32 v16, 0xbf7ba420, v57 :: v_dual_add_f32 v27, v137, v28
	v_fma_f32 v28, 0xbf7ba420, v49, -v161
	s_delay_alu instid0(VALU_DEP_2) | instskip(SKIP_2) | instid1(VALU_DEP_3)
	v_add_f32_e32 v16, v16, v17
	v_add_f32_e32 v17, v24, v21
	v_fma_f32 v21, 0x3f3d2fb0, v58, -v148
	v_dual_add_f32 v16, v18, v16 :: v_dual_fmac_f32 v123, 0x3f3d2fb0, v57
	s_delay_alu instid0(VALU_DEP_2) | instskip(SKIP_1) | instid1(VALU_DEP_3)
	v_add_f32_e32 v17, v21, v17
	v_fma_f32 v18, 0xbf7ba420, v60, -v149
	v_add_f32_e32 v22, v22, v16
	v_fma_f32 v16, 0xbe8c1d8e, v51, -v150
	s_delay_alu instid0(VALU_DEP_3) | instskip(SKIP_1) | instid1(VALU_DEP_3)
	v_add_f32_e32 v17, v18, v17
	v_fma_f32 v18, 0x3ee437d1, v62, -v151
	v_add_f32_e32 v16, v41, v16
	v_fmac_f32_e32 v138, 0xbf59a7d5, v53
	s_delay_alu instid0(VALU_DEP_3) | instskip(NEXT) | instid1(VALU_DEP_2)
	v_add_f32_e32 v17, v18, v17
	v_add_f32_e32 v24, v138, v27
	s_delay_alu instid0(VALU_DEP_1) | instskip(SKIP_1) | instid1(VALU_DEP_2)
	v_add_f32_e32 v21, v139, v24
	v_fma_f32 v24, 0xbf59a7d5, v49, -v152
	v_add_f32_e32 v21, v123, v21
	s_delay_alu instid0(VALU_DEP_1) | instskip(SKIP_2) | instid1(VALU_DEP_2)
	v_dual_add_f32 v18, v35, v21 :: v_dual_add_f32 v21, v24, v16
	v_fma_f32 v24, 0x3f3d2fb0, v52, -v141
	v_add3_u32 v35, 0, v32, v45
	v_add_f32_e32 v21, v24, v21
	v_add_f32_e32 v27, v40, v156
	v_fma_f32 v24, 0x3ee437d1, v54, -v126
	s_delay_alu instid0(VALU_DEP_2) | instskip(NEXT) | instid1(VALU_DEP_2)
	v_add_f32_e32 v27, v130, v27
	v_add_f32_e32 v21, v24, v21
	v_fma_f32 v24, 0xbf7ba420, v56, -v128
	s_delay_alu instid0(VALU_DEP_3) | instskip(SKIP_1) | instid1(VALU_DEP_3)
	v_dual_add_f32 v27, v133, v27 :: v_dual_add_f32 v16, v132, v18
	v_fma_f32 v18, 0x3dbcf732, v51, -v160
	v_add_f32_e32 v21, v24, v21
	v_fma_f32 v24, 0x3dbcf732, v58, -v129
	s_delay_alu instid0(VALU_DEP_1) | instskip(SKIP_1) | instid1(VALU_DEP_2)
	v_dual_add_f32 v18, v41, v18 :: v_dual_add_f32 v21, v24, v21
	v_fma_f32 v24, 0x3f6eb680, v60, -v157
	v_add_f32_e32 v18, v28, v18
	v_fma_f32 v28, 0xbe8c1d8e, v52, -v162
	s_delay_alu instid0(VALU_DEP_3) | instskip(SKIP_1) | instid1(VALU_DEP_3)
	v_add_f32_e32 v21, v24, v21
	v_fma_f32 v24, 0xbf1a4643, v62, -v159
	v_add_f32_e32 v18, v28, v18
	v_fma_f32 v28, 0x3f6eb680, v54, -v164
	s_delay_alu instid0(VALU_DEP_1) | instskip(SKIP_1) | instid1(VALU_DEP_1)
	v_add_f32_e32 v18, v28, v18
	v_fma_f32 v28, 0x3ee437d1, v56, -v165
	v_add_f32_e32 v18, v28, v18
	v_add_f32_e32 v27, v140, v27
	;; [unrolled: 1-line block ×3, first 2 shown]
	v_fma_f32 v24, 0xbf1a4643, v60, -v167
	s_delay_alu instid0(VALU_DEP_3) | instskip(SKIP_2) | instid1(VALU_DEP_3)
	v_dual_add_f32 v18, v29, v18 :: v_dual_add_f32 v27, v142, v27
	v_fmac_f32_e32 v155, 0xbf1a4643, v61
	v_add_f32_e32 v29, v40, v163
	v_dual_add_f32 v18, v24, v18 :: v_dual_add_f32 v27, v153, v27
	s_delay_alu instid0(VALU_DEP_2) | instskip(SKIP_1) | instid1(VALU_DEP_3)
	v_add_f32_e32 v24, v146, v29
	v_fma_f32 v29, 0x3f3d2fb0, v49, -v81
	v_add_f32_e32 v21, v154, v27
	s_delay_alu instid0(VALU_DEP_1) | instskip(SKIP_1) | instid1(VALU_DEP_1)
	v_add_f32_e32 v27, v155, v21
	v_fma_f32 v21, 0x3f6eb680, v51, -v68
	v_dual_add_f32 v21, v41, v21 :: v_dual_add_f32 v24, v147, v24
	s_delay_alu instid0(VALU_DEP_1) | instskip(SKIP_2) | instid1(VALU_DEP_2)
	v_add_f32_e32 v21, v29, v21
	v_fma_f32 v29, 0x3ee437d1, v52, -v67
	v_add_f32_e32 v30, v86, v30
	v_dual_add_f32 v24, v158, v24 :: v_dual_add_f32 v21, v29, v21
	v_fma_f32 v29, 0x3dbcf732, v54, -v70
	s_delay_alu instid0(VALU_DEP_1) | instskip(NEXT) | instid1(VALU_DEP_1)
	v_dual_fmac_f32 v88, 0x3ee437d1, v50 :: v_dual_add_f32 v21, v29, v21
	v_add_f32_e32 v30, v88, v30
	v_fma_f32 v29, 0xbe8c1d8e, v56, -v72
	v_fmac_f32_e32 v116, 0x3ee437d1, v55
	s_delay_alu instid0(VALU_DEP_3) | instskip(NEXT) | instid1(VALU_DEP_2)
	v_add_f32_e32 v30, v69, v30
	v_dual_add_f32 v21, v29, v21 :: v_dual_add_f32 v24, v116, v24
	v_fma_f32 v29, 0xbf1a4643, v58, -v75
	s_delay_alu instid0(VALU_DEP_1) | instskip(SKIP_1) | instid1(VALU_DEP_2)
	v_dual_add_f32 v30, v71, v30 :: v_dual_add_f32 v21, v29, v21
	v_fma_f32 v29, 0xbf59a7d5, v60, -v77
	v_add_f32_e32 v30, v73, v30
	s_delay_alu instid0(VALU_DEP_1) | instskip(SKIP_2) | instid1(VALU_DEP_3)
	v_dual_add_f32 v21, v29, v21 :: v_dual_add_f32 v34, v76, v30
	v_fmac_f32_e32 v114, 0xbf59a7d5, v57
	v_add_f32_e32 v30, v31, v18
	v_dual_add_f32 v32, v33, v21 :: v_dual_add_f32 v31, v74, v34
	s_delay_alu instid0(VALU_DEP_3) | instskip(NEXT) | instid1(VALU_DEP_1)
	v_add_f32_e32 v24, v114, v24
	v_add_f32_e32 v24, v101, v24
	s_delay_alu instid0(VALU_DEP_1)
	v_add_f32_e32 v29, v104, v24
	ds_store_2addr_b64 v35, v[4:5], v[65:66] offset1:1
	ds_store_2addr_b64 v35, v[63:64], v[14:15] offset0:2 offset1:3
	ds_store_2addr_b64 v35, v[12:13], v[10:11] offset0:4 offset1:5
	;; [unrolled: 1-line block ×7, first 2 shown]
	ds_store_b64 v35, v[31:32] offset:128
.LBB0_12:
	s_wait_alu 0xfffe
	s_or_b32 exec_lo, exec_lo, s1
	v_add_nc_u32_e32 v4, 0x400, v44
	global_wb scope:SCOPE_SE
	s_wait_dscnt 0x0
	s_barrier_signal -1
	s_barrier_wait -1
	global_inv scope:SCOPE_SE
	ds_load_2addr_b64 v[16:19], v4 offset0:127 offset1:161
	ds_load_2addr_b64 v[4:7], v44 offset0:34 offset1:68
	;; [unrolled: 1-line block ×6, first 2 shown]
	ds_load_b64 v[32:33], v42
	ds_load_b64 v[30:31], v44 offset:3672
	v_cmp_gt_u32_e64 s0, 17, v36
	s_delay_alu instid0(VALU_DEP_1)
	s_and_saveexec_b32 s1, s0
	s_cbranch_execz .LBB0_14
; %bb.13:
	v_add_nc_u32_e32 v0, 0x770, v44
	ds_load_2addr_b64 v[0:3], v0 offset1:255
.LBB0_14:
	s_wait_alu 0xfffe
	s_or_b32 exec_lo, exec_lo, s1
	v_subrev_nc_u32_e32 v28, 17, v36
	v_dual_mov_b32 v29, 0 :: v_dual_add_nc_u32 v34, 0x44, v36
	v_add_nc_u16 v40, v36, 0x66
	v_add_nc_u16 v41, v36, 0x88
	s_delay_alu instid0(VALU_DEP_4) | instskip(SKIP_3) | instid1(VALU_DEP_4)
	v_cndmask_b32_e64 v28, v28, v36, s0
	v_add_nc_u16 v51, v36, 0xaa
	v_add_nc_u16 v52, v36, 0xcc
	v_and_b32_e32 v53, 0xff, v40
	v_lshlrev_b64_e32 v[49:50], 3, v[28:29]
	s_delay_alu instid0(VALU_DEP_4) | instskip(NEXT) | instid1(VALU_DEP_4)
	v_and_b32_e32 v54, 0xff, v51
	v_and_b32_e32 v55, 0xff, v52
	v_lshlrev_b32_e32 v28, 3, v28
	s_delay_alu instid0(VALU_DEP_4)
	v_add_co_u32 v49, s1, s4, v49
	s_wait_alu 0xf1ff
	v_add_co_ci_u32_e64 v50, s1, s5, v50, s1
	v_mul_lo_u16 v55, 0xf1, v55
	v_cmp_lt_u32_e64 s1, 16, v36
	global_load_b64 v[49:50], v[49:50], off
	v_add_nc_u32_e32 v35, 34, v36
	v_and_b32_e32 v47, 0xff, v34
	v_lshrrev_b16 v69, 12, v55
	s_wait_alu 0xf1ff
	v_cndmask_b32_e64 v75, 0, 0x110, s1
	v_and_b32_e32 v46, 0xff, v35
	v_mul_lo_u16 v48, 0xf1, v47
	v_mul_lo_u16 v47, 0xf1, v53
	;; [unrolled: 1-line block ×3, first 2 shown]
	s_delay_alu instid0(VALU_DEP_4) | instskip(NEXT) | instid1(VALU_DEP_4)
	v_mul_lo_u16 v46, 0xf1, v46
	v_lshrrev_b16 v64, 12, v48
	s_delay_alu instid0(VALU_DEP_4) | instskip(NEXT) | instid1(VALU_DEP_4)
	v_lshrrev_b16 v65, 12, v47
	v_lshrrev_b16 v68, 12, v53
	s_delay_alu instid0(VALU_DEP_4) | instskip(SKIP_1) | instid1(VALU_DEP_4)
	v_lshrrev_b16 v63, 12, v46
	v_and_b32_e32 v46, 0xff, v41
	v_mul_lo_u16 v57, v65, 17
	s_delay_alu instid0(VALU_DEP_3) | instskip(NEXT) | instid1(VALU_DEP_3)
	v_mul_lo_u16 v56, v63, 17
	v_mul_lo_u16 v46, 0xf1, v46
	s_delay_alu instid0(VALU_DEP_3) | instskip(SKIP_1) | instid1(VALU_DEP_4)
	v_sub_nc_u16 v55, v40, v57
	v_mul_lo_u16 v57, v69, 17
	v_sub_nc_u16 v54, v35, v56
	s_delay_alu instid0(VALU_DEP_4) | instskip(SKIP_4) | instid1(VALU_DEP_4)
	v_lshrrev_b16 v66, 12, v46
	v_mul_lo_u16 v56, v64, 17
	v_and_b32_e32 v55, 0xff, v55
	v_sub_nc_u16 v52, v52, v57
	v_and_b32_e32 v54, 0xff, v54
	v_sub_nc_u16 v53, v34, v56
	v_mul_lo_u16 v56, v68, 17
	v_lshlrev_b32_e32 v71, 3, v55
	s_delay_alu instid0(VALU_DEP_4)
	v_lshlrev_b32_e32 v67, 3, v54
	v_mul_lo_u16 v54, v66, 17
	v_and_b32_e32 v53, 0xff, v53
	v_sub_nc_u16 v51, v51, v56
	v_and_b32_e32 v57, 0xff, v52
	v_and_b32_e32 v66, 0xffff, v66
	v_sub_nc_u16 v54, v41, v54
	v_lshlrev_b32_e32 v70, 3, v53
	v_and_b32_e32 v55, 0xff, v51
	v_lshlrev_b32_e32 v74, 3, v57
	global_load_b64 v[51:52], v67, s[4:5]
	v_and_b32_e32 v53, 0xff, v54
	v_mad_u32_u24 v66, 0x110, v66, 0
	v_lshlrev_b32_e32 v73, 3, v55
	global_load_b64 v[55:56], v71, s[4:5]
	v_and_b32_e32 v68, 0xffff, v68
	v_lshlrev_b32_e32 v72, 3, v53
	global_load_b64 v[53:54], v70, s[4:5]
	v_add_nc_u32_e32 v75, 0, v75
	s_clause 0x2
	global_load_b64 v[57:58], v72, s[4:5]
	global_load_b64 v[59:60], v73, s[4:5]
	;; [unrolled: 1-line block ×3, first 2 shown]
	v_and_b32_e32 v63, 0xffff, v63
	v_add3_u32 v28, v75, v28, v45
	v_and_b32_e32 v69, 0xffff, v69
	v_mad_u32_u24 v68, 0x110, v68, 0
	global_wb scope:SCOPE_SE
	s_wait_loadcnt_dscnt 0x0
	v_mad_u32_u24 v63, 0x110, v63, 0
	s_barrier_signal -1
	v_mad_u32_u24 v69, 0x110, v69, 0
	s_barrier_wait -1
	global_inv scope:SCOPE_SE
	v_mul_f32_e32 v75, v50, v17
	v_mul_f32_e32 v50, v50, v16
	s_delay_alu instid0(VALU_DEP_2) | instskip(NEXT) | instid1(VALU_DEP_2)
	v_fma_f32 v16, v49, v16, -v75
	v_fmac_f32_e32 v50, v49, v17
	s_delay_alu instid0(VALU_DEP_1) | instskip(SKIP_3) | instid1(VALU_DEP_4)
	v_dual_sub_f32 v16, v32, v16 :: v_dual_sub_f32 v17, v33, v50
	v_add3_u32 v50, v66, v72, v45
	v_add3_u32 v49, v63, v67, v45
	;; [unrolled: 1-line block ×3, first 2 shown]
	v_fma_f32 v32, v32, 2.0, -v16
	v_fma_f32 v33, v33, 2.0, -v17
	ds_store_2addr_b64 v28, v[32:33], v[16:17] offset1:17
	v_mul_f32_e32 v67, v52, v19
	v_dual_mul_f32 v52, v52, v18 :: v_dual_and_b32 v65, 0xffff, v65
	v_mul_f32_e32 v69, v56, v23
	v_mul_f32_e32 v56, v56, v22
	s_delay_alu instid0(VALU_DEP_3) | instskip(NEXT) | instid1(VALU_DEP_4)
	v_fmac_f32_e32 v52, v51, v19
	v_mad_u32_u24 v65, 0x110, v65, 0
	v_fma_f32 v16, v51, v18, -v67
	s_delay_alu instid0(VALU_DEP_4) | instskip(SKIP_2) | instid1(VALU_DEP_4)
	v_fmac_f32_e32 v56, v55, v23
	v_mul_f32_e32 v72, v62, v31
	v_mul_f32_e32 v62, v62, v30
	v_sub_f32_e32 v16, v4, v16
	v_sub_f32_e32 v17, v5, v52
	s_delay_alu instid0(VALU_DEP_3) | instskip(SKIP_1) | instid1(VALU_DEP_4)
	v_fmac_f32_e32 v62, v61, v31
	v_and_b32_e32 v64, 0xffff, v64
	v_fma_f32 v4, v4, 2.0, -v16
	s_delay_alu instid0(VALU_DEP_4) | instskip(NEXT) | instid1(VALU_DEP_3)
	v_fma_f32 v5, v5, 2.0, -v17
	v_mad_u32_u24 v64, 0x110, v64, 0
	s_delay_alu instid0(VALU_DEP_1)
	v_add3_u32 v63, v64, v70, v45
	v_mul_f32_e32 v70, v58, v25
	v_mul_f32_e32 v58, v58, v24
	v_add3_u32 v64, v65, v71, v45
	v_add3_u32 v65, v68, v73, v45
	v_mul_f32_e32 v68, v54, v21
	v_dual_mul_f32 v54, v54, v20 :: v_dual_mul_f32 v71, v60, v27
	v_mul_f32_e32 v60, v60, v26
	v_fmac_f32_e32 v58, v57, v25
	s_delay_alu instid0(VALU_DEP_4) | instskip(NEXT) | instid1(VALU_DEP_4)
	v_fma_f32 v18, v53, v20, -v68
	v_fmac_f32_e32 v54, v53, v21
	v_fma_f32 v20, v55, v22, -v69
	v_fma_f32 v22, v57, v24, -v70
	;; [unrolled: 1-line block ×3, first 2 shown]
	v_fmac_f32_e32 v60, v59, v27
	v_sub_f32_e32 v27, v15, v62
	v_fma_f32 v26, v61, v30, -v72
	v_sub_f32_e32 v18, v6, v18
	v_sub_f32_e32 v19, v7, v54
	;; [unrolled: 1-line block ×4, first 2 shown]
	v_dual_sub_f32 v21, v9, v56 :: v_dual_sub_f32 v22, v10, v22
	v_dual_sub_f32 v23, v11, v58 :: v_dual_sub_f32 v24, v12, v24
	v_sub_f32_e32 v26, v14, v26
	v_fma_f32 v6, v6, 2.0, -v18
	v_fma_f32 v7, v7, 2.0, -v19
	;; [unrolled: 1-line block ×10, first 2 shown]
	ds_store_2addr_b64 v49, v[4:5], v[16:17] offset1:17
	ds_store_2addr_b64 v63, v[6:7], v[18:19] offset1:17
	;; [unrolled: 1-line block ×6, first 2 shown]
	s_and_saveexec_b32 s1, s0
	s_cbranch_execz .LBB0_16
; %bb.15:
	v_add_nc_u32_e32 v4, 0xee, v36
	s_delay_alu instid0(VALU_DEP_1) | instskip(NEXT) | instid1(VALU_DEP_1)
	v_and_b32_e32 v5, 0xffff, v4
	v_mul_u32_u24_e32 v5, 0xf0f1, v5
	s_delay_alu instid0(VALU_DEP_1) | instskip(NEXT) | instid1(VALU_DEP_1)
	v_lshrrev_b32_e32 v5, 20, v5
	v_mul_lo_u16 v5, v5, 17
	s_delay_alu instid0(VALU_DEP_1) | instskip(NEXT) | instid1(VALU_DEP_1)
	v_sub_nc_u16 v4, v4, v5
	v_and_b32_e32 v4, 0xffff, v4
	s_delay_alu instid0(VALU_DEP_1) | instskip(SKIP_4) | instid1(VALU_DEP_2)
	v_lshlrev_b32_e32 v6, 3, v4
	global_load_b64 v[4:5], v6, s[4:5]
	s_wait_loadcnt 0x0
	v_mul_f32_e32 v7, v2, v5
	v_mul_f32_e32 v5, v3, v5
	v_fmac_f32_e32 v7, v3, v4
	s_delay_alu instid0(VALU_DEP_2) | instskip(NEXT) | instid1(VALU_DEP_1)
	v_fma_f32 v2, v2, v4, -v5
	v_dual_sub_f32 v3, v1, v7 :: v_dual_sub_f32 v2, v0, v2
	v_add3_u32 v4, 0, v6, v45
	s_delay_alu instid0(VALU_DEP_2) | instskip(NEXT) | instid1(VALU_DEP_3)
	v_fma_f32 v1, v1, 2.0, -v3
	v_fma_f32 v0, v0, 2.0, -v2
	s_delay_alu instid0(VALU_DEP_3)
	v_add_nc_u32_e32 v4, 0x800, v4
	ds_store_2addr_b64 v4, v[0:1], v[2:3] offset0:220 offset1:237
.LBB0_16:
	s_wait_alu 0xfffe
	s_or_b32 exec_lo, exec_lo, s1
	v_lshlrev_b32_e32 v28, 1, v36
	v_lshrrev_b16 v2, 13, v48
	v_lshrrev_b16 v3, 13, v47
	global_wb scope:SCOPE_SE
	s_wait_dscnt 0x0
	s_barrier_signal -1
	v_lshlrev_b64_e32 v[0:1], 3, v[28:29]
	v_mul_lo_u16 v4, v2, 34
	s_barrier_wait -1
	global_inv scope:SCOPE_SE
	v_lshrrev_b16 v5, 13, v46
	v_mul_lo_u16 v6, v3, 34
	v_add_co_u32 v0, s1, s4, v0
	s_wait_alu 0xf1ff
	v_add_co_ci_u32_e64 v1, s1, s5, v1, s1
	v_sub_nc_u16 v4, v34, v4
	v_mul_lo_u16 v5, v5, 34
	v_sub_nc_u16 v6, v40, v6
	global_load_b128 v[0:3], v[0:1], off offset:136
	s_mov_b32 s2, exec_lo
	v_and_b32_e32 v64, 0xff, v4
	v_sub_nc_u16 v4, v41, v5
	v_and_b32_e32 v65, 0xff, v6
	s_delay_alu instid0(VALU_DEP_3) | instskip(SKIP_3) | instid1(VALU_DEP_2)
	v_lshlrev_b32_e32 v5, 4, v64
	global_load_b128 v[6:9], v5, s[4:5] offset:136
	v_and_b32_e32 v66, 0xff, v4
	v_lshlrev_b32_e32 v4, 4, v65
	v_lshlrev_b32_e32 v5, 4, v66
	s_clause 0x1
	global_load_b128 v[10:13], v4, s[4:5] offset:136
	global_load_b128 v[14:17], v5, s[4:5] offset:136
	ds_load_b64 v[26:27], v42
	ds_load_2addr_b64 v[18:21], v44 offset0:170 offset1:204
	v_add_nc_u32_e32 v4, 0x800, v44
	v_add_nc_u32_e32 v5, 0x400, v44
	ds_load_2addr_b64 v[22:25], v44 offset0:34 offset1:68
	ds_load_2addr_b64 v[30:33], v44 offset0:102 offset1:136
	;; [unrolled: 1-line block ×6, first 2 shown]
	global_wb scope:SCOPE_SE
	s_wait_loadcnt_dscnt 0x0
	s_barrier_signal -1
	s_barrier_wait -1
	global_inv scope:SCOPE_SE
	v_dual_mul_f32 v67, v1, v18 :: v_dual_lshlrev_b32 v28, 2, v36
	v_mul_f32_e32 v68, v3, v49
	v_mul_f32_e32 v69, v3, v48
	;; [unrolled: 1-line block ×3, first 2 shown]
	s_delay_alu instid0(VALU_DEP_4)
	v_fmac_f32_e32 v67, v0, v19
	v_lshlrev_b64_e32 v[40:41], 3, v[28:29]
	v_dual_mul_f32 v3, v3, v50 :: v_dual_lshlrev_b32 v28, 2, v35
	v_mul_f32_e32 v70, v1, v21
	v_dual_fmac_f32 v69, v2, v49 :: v_dual_lshlrev_b32 v64, 3, v64
	v_mul_f32_e32 v49, v52, v9
	s_delay_alu instid0(VALU_DEP_4)
	v_lshlrev_b64_e32 v[62:63], 3, v[28:29]
	v_lshlrev_b32_e32 v28, 2, v34
	v_add_co_u32 v34, s1, s4, v40
	s_wait_alu 0xf1ff
	v_add_co_ci_u32_e64 v35, s1, s5, v41, s1
	v_dual_mul_f32 v66, v1, v19 :: v_dual_lshlrev_b32 v41, 3, v66
	v_dual_fmac_f32 v3, v2, v51 :: v_dual_lshlrev_b32 v40, 3, v65
	v_mul_f32_e32 v1, v1, v20
	v_fma_f32 v19, v2, v48, -v68
	s_delay_alu instid0(VALU_DEP_4) | instskip(NEXT) | instid1(VALU_DEP_4)
	v_fma_f32 v18, v0, v18, -v66
	v_add3_u32 v40, 0, v40, v45
	v_fma_f32 v20, v0, v20, -v70
	v_fmac_f32_e32 v1, v0, v21
	v_fma_f32 v21, v2, v50, -v71
	v_mul_f32_e32 v0, v55, v7
	v_mul_f32_e32 v48, v54, v7
	v_add3_u32 v41, 0, v41, v45
	v_dual_mul_f32 v2, v53, v9 :: v_dual_mul_f32 v9, v56, v11
	v_add3_u32 v45, 0, v64, v45
	v_dual_mul_f32 v7, v57, v11 :: v_dual_add_nc_u32 v64, 0x800, v40
	v_mul_f32_e32 v11, v59, v13
	v_dual_mul_f32 v50, v58, v13 :: v_dual_mul_f32 v13, v47, v15
	v_dual_mul_f32 v15, v46, v15 :: v_dual_mul_f32 v66, v60, v17
	v_dual_mul_f32 v51, v61, v17 :: v_dual_add_f32 v72, v22, v20
	v_dual_add_f32 v68, v18, v19 :: v_dual_add_nc_u32 v65, 0x800, v41
	v_dual_add_f32 v17, v26, v18 :: v_dual_sub_f32 v70, v67, v69
	v_add_f32_e32 v71, v27, v67
	v_dual_add_f32 v67, v67, v69 :: v_dual_sub_f32 v74, v1, v3
	v_fma_f32 v54, v54, v6, -v0
	v_dual_fmac_f32 v48, v55, v6 :: v_dual_fmac_f32 v49, v53, v8
	v_fma_f32 v52, v52, v8, -v2
	v_dual_sub_f32 v18, v18, v19 :: v_dual_add_f32 v75, v23, v1
	v_fmac_f32_e32 v66, v61, v16
	v_fma_f32 v8, v56, v10, -v7
	v_dual_fmac_f32 v9, v57, v10 :: v_dual_fmac_f32 v50, v59, v12
	v_fma_f32 v53, v58, v12, -v11
	v_dual_add_f32 v73, v20, v21 :: v_dual_add_f32 v76, v1, v3
	v_fma_f32 v10, v46, v14, -v13
	v_dual_fmac_f32 v15, v47, v14 :: v_dual_add_f32 v0, v17, v19
	v_fma_f32 v46, v60, v16, -v51
	v_fma_f32 v26, -0.5, v68, v26
	v_dual_fmac_f32 v27, -0.5, v67 :: v_dual_add_f32 v2, v72, v21
	v_dual_add_f32 v13, v54, v52 :: v_dual_add_f32 v16, v48, v49
	v_dual_sub_f32 v20, v20, v21 :: v_dual_add_f32 v3, v75, v3
	v_dual_add_f32 v14, v25, v48 :: v_dual_sub_f32 v21, v48, v49
	v_dual_add_f32 v17, v30, v8 :: v_dual_add_f32 v48, v9, v50
	v_dual_add_f32 v19, v8, v53 :: v_dual_sub_f32 v56, v15, v66
	v_dual_add_f32 v1, v71, v69 :: v_dual_add_f32 v12, v24, v54
	v_fma_f32 v6, -0.5, v73, v22
	v_fma_f32 v7, -0.5, v76, v23
	v_dual_sub_f32 v51, v8, v53 :: v_dual_add_f32 v58, v15, v66
	s_delay_alu instid0(VALU_DEP_4)
	v_dual_add_f32 v55, v10, v46 :: v_dual_add_f32 v12, v12, v52
	v_dual_sub_f32 v22, v54, v52 :: v_dual_sub_f32 v23, v9, v50
	v_dual_fmamk_f32 v8, v70, 0x3f5db3d7, v26 :: v_dual_add_f32 v47, v31, v9
	v_dual_add_f32 v54, v32, v10 :: v_dual_fmamk_f32 v9, v18, 0xbf5db3d7, v27
	v_fma_f32 v24, -0.5, v13, v24
	v_fmac_f32_e32 v25, -0.5, v16
	v_dual_add_f32 v57, v33, v15 :: v_dual_fmac_f32 v26, 0xbf5db3d7, v70
	v_sub_f32_e32 v59, v10, v46
	v_dual_fmac_f32 v27, 0x3f5db3d7, v18 :: v_dual_fmamk_f32 v10, v74, 0x3f5db3d7, v6
	v_fma_f32 v16, -0.5, v19, v30
	v_add_f32_e32 v13, v14, v49
	v_add_f32_e32 v14, v17, v53
	v_fma_f32 v17, -0.5, v48, v31
	v_dual_fmac_f32 v6, 0xbf5db3d7, v74 :: v_dual_fmamk_f32 v11, v20, 0xbf5db3d7, v7
	v_dual_add_f32 v18, v54, v46 :: v_dual_fmac_f32 v7, 0x3f5db3d7, v20
	v_fma_f32 v32, -0.5, v55, v32
	v_fmac_f32_e32 v33, -0.5, v58
	ds_store_2addr_b64 v44, v[0:1], v[8:9] offset1:34
	ds_store_2addr_b64 v44, v[26:27], v[2:3] offset0:68 offset1:102
	ds_store_2addr_b64 v44, v[10:11], v[6:7] offset0:136 offset1:170
	v_fmamk_f32 v0, v21, 0x3f5db3d7, v24
	v_dual_fmac_f32 v24, 0xbf5db3d7, v21 :: v_dual_fmamk_f32 v1, v22, 0xbf5db3d7, v25
	v_add_f32_e32 v15, v47, v50
	v_fmamk_f32 v2, v23, 0x3f5db3d7, v16
	v_dual_fmac_f32 v16, 0xbf5db3d7, v23 :: v_dual_fmamk_f32 v3, v51, 0xbf5db3d7, v17
	v_dual_add_f32 v19, v57, v66 :: v_dual_fmamk_f32 v6, v56, 0x3f5db3d7, v32
	v_dual_fmac_f32 v32, 0xbf5db3d7, v56 :: v_dual_fmamk_f32 v7, v59, 0xbf5db3d7, v33
	v_fmac_f32_e32 v25, 0x3f5db3d7, v22
	v_fmac_f32_e32 v17, 0x3f5db3d7, v51
	;; [unrolled: 1-line block ×3, first 2 shown]
	ds_store_2addr_b64 v45, v[12:13], v[0:1] offset0:204 offset1:238
	ds_store_2addr_b64 v64, v[14:15], v[2:3] offset0:50 offset1:84
	;; [unrolled: 1-line block ×3, first 2 shown]
	ds_store_b64 v45, v[24:25] offset:2176
	ds_store_b64 v40, v[16:17] offset:2992
	ds_store_b64 v41, v[32:33] offset:3808
	v_add_co_u32 v0, s1, s4, v62
	s_wait_alu 0xf1ff
	v_add_co_ci_u32_e64 v1, s1, s5, v63, s1
	v_lshlrev_b64_e32 v[2:3], 3, v[28:29]
	global_wb scope:SCOPE_SE
	s_wait_dscnt 0x0
	s_barrier_signal -1
	s_barrier_wait -1
	global_inv scope:SCOPE_SE
	s_clause 0x2
	global_load_b128 v[6:9], v[34:35], off offset:680
	global_load_b128 v[10:13], v[34:35], off offset:696
	;; [unrolled: 1-line block ×3, first 2 shown]
	v_add_co_u32 v2, s1, s4, v2
	s_wait_alu 0xf1ff
	v_add_co_ci_u32_e64 v3, s1, s5, v3, s1
	s_clause 0x2
	global_load_b128 v[18:21], v[0:1], off offset:696
	global_load_b128 v[22:25], v[2:3], off offset:680
	;; [unrolled: 1-line block ×3, first 2 shown]
	ds_load_b64 v[34:35], v44 offset:816
	ds_load_2addr_b64 v[30:33], v44 offset0:170 offset1:204
	ds_load_2addr_b64 v[45:48], v4 offset0:50 offset1:84
	;; [unrolled: 1-line block ×3, first 2 shown]
	ds_load_2addr_b32 v[40:41], v5 offset0:16 offset1:17
	ds_load_2addr_b64 v[53:56], v5 offset0:110 offset1:144
	ds_load_b64 v[61:62], v42
	ds_load_2addr_b64 v[57:60], v4 offset0:186 offset1:220
	ds_load_2addr_b64 v[0:3], v44 offset0:34 offset1:68
	global_wb scope:SCOPE_SE
	s_wait_loadcnt_dscnt 0x0
	s_barrier_signal -1
	s_barrier_wait -1
	global_inv scope:SCOPE_SE
	v_mul_f32_e32 v64, v9, v33
	v_mul_f32_e32 v66, v11, v45
	;; [unrolled: 1-line block ×3, first 2 shown]
	v_dual_mul_f32 v7, v7, v34 :: v_dual_mul_f32 v68, v54, v17
	s_delay_alu instid0(VALU_DEP_3) | instskip(NEXT) | instid1(VALU_DEP_3)
	v_fmac_f32_e32 v66, v10, v46
	v_fma_f32 v34, v6, v34, -v63
	s_delay_alu instid0(VALU_DEP_3)
	v_fmac_f32_e32 v7, v6, v35
	v_fma_f32 v6, v8, v32, -v64
	v_dual_mul_f32 v67, v13, v51 :: v_dual_mul_f32 v70, v58, v21
	v_mul_f32_e32 v73, v50, v27
	v_mul_f32_e32 v65, v11, v46
	;; [unrolled: 1-line block ×3, first 2 shown]
	s_delay_alu instid0(VALU_DEP_4) | instskip(SKIP_4) | instid1(VALU_DEP_4)
	v_fmac_f32_e32 v67, v12, v52
	v_mul_f32_e32 v71, v57, v21
	v_mul_f32_e32 v9, v9, v32
	v_fma_f32 v35, v57, v20, -v70
	v_mul_f32_e32 v74, v60, v29
	v_dual_mul_f32 v72, v56, v25 :: v_dual_fmac_f32 v71, v58, v20
	v_fma_f32 v20, v49, v26, -v73
	v_mul_f32_e32 v27, v49, v27
	s_delay_alu instid0(VALU_DEP_1)
	v_dual_fmac_f32 v27, v50, v26 :: v_dual_sub_f32 v26, v7, v67
	v_fmac_f32_e32 v9, v8, v33
	v_fma_f32 v33, v12, v51, -v11
	v_mul_f32_e32 v13, v41, v15
	v_fma_f32 v12, v55, v24, -v72
	v_mul_f32_e32 v15, v15, v40
	s_delay_alu instid0(VALU_DEP_3) | instskip(SKIP_2) | instid1(VALU_DEP_3)
	v_fma_f32 v8, v14, v40, -v13
	v_mul_f32_e32 v21, v31, v23
	v_mul_f32_e32 v23, v30, v23
	v_sub_f32_e32 v64, v8, v35
	s_delay_alu instid0(VALU_DEP_3) | instskip(SKIP_1) | instid1(VALU_DEP_4)
	v_fma_f32 v11, v30, v22, -v21
	v_fma_f32 v30, v59, v28, -v74
	v_dual_fmac_f32 v23, v31, v22 :: v_dual_add_f32 v22, v34, v33
	v_fma_f32 v32, v10, v45, -v65
	v_fma_f32 v10, v53, v16, -v68
	s_delay_alu instid0(VALU_DEP_4) | instskip(SKIP_3) | instid1(VALU_DEP_3)
	v_sub_f32_e32 v78, v30, v20
	v_dual_sub_f32 v84, v11, v30 :: v_dual_mul_f32 v17, v53, v17
	v_add_f32_e32 v40, v62, v7
	v_dual_mul_f32 v69, v48, v19 :: v_dual_sub_f32 v46, v7, v9
	v_dual_sub_f32 v80, v12, v11 :: v_dual_fmac_f32 v17, v54, v16
	v_sub_f32_e32 v21, v33, v32
	s_delay_alu instid0(VALU_DEP_3) | instskip(SKIP_4) | instid1(VALU_DEP_4)
	v_fma_f32 v16, v47, v18, -v69
	v_mul_f32_e32 v19, v47, v19
	v_add_f32_e32 v73, v2, v11
	v_add_f32_e32 v82, v3, v23
	v_sub_f32_e32 v58, v10, v8
	v_dual_add_f32 v52, v10, v16 :: v_dual_fmac_f32 v19, v48, v18
	v_sub_f32_e32 v18, v34, v6
	v_add_f32_e32 v74, v12, v20
	s_delay_alu instid0(VALU_DEP_3) | instskip(SKIP_1) | instid1(VALU_DEP_4)
	v_sub_f32_e32 v72, v19, v71
	v_dual_mul_f32 v29, v59, v29 :: v_dual_sub_f32 v54, v17, v19
	v_dual_add_f32 v90, v18, v21 :: v_dual_sub_f32 v77, v11, v12
	v_add_f32_e32 v51, v0, v8
	s_delay_alu instid0(VALU_DEP_3) | instskip(SKIP_2) | instid1(VALU_DEP_3)
	v_dual_fmac_f32 v29, v60, v28 :: v_dual_sub_f32 v28, v9, v66
	v_fmac_f32_e32 v15, v41, v14
	v_dual_add_f32 v13, v61, v34 :: v_dual_add_f32 v14, v6, v32
	v_add_f32_e32 v88, v23, v29
	s_delay_alu instid0(VALU_DEP_3) | instskip(SKIP_2) | instid1(VALU_DEP_2)
	v_add_f32_e32 v70, v15, v71
	v_dual_mul_f32 v25, v55, v25 :: v_dual_sub_f32 v50, v66, v67
	v_dual_sub_f32 v47, v67, v66 :: v_dual_add_f32 v60, v1, v15
	v_dual_sub_f32 v68, v15, v17 :: v_dual_fmac_f32 v25, v56, v24
	v_sub_f32_e32 v24, v6, v34
	v_dual_add_f32 v13, v13, v6 :: v_dual_add_f32 v18, v40, v9
	v_add_f32_e32 v48, v7, v67
	s_delay_alu instid0(VALU_DEP_4)
	v_sub_f32_e32 v86, v23, v25
	v_sub_f32_e32 v76, v25, v27
	;; [unrolled: 1-line block ×5, first 2 shown]
	v_fma_f32 v6, -0.5, v14, v61
	v_add_f32_e32 v57, v8, v35
	v_fma_f32 v61, -0.5, v22, v61
	v_dual_add_f32 v22, v73, v12 :: v_dual_sub_f32 v31, v32, v33
	v_dual_add_f32 v40, v46, v47 :: v_dual_add_f32 v41, v9, v66
	v_sub_f32_e32 v53, v15, v71
	v_dual_sub_f32 v55, v8, v10 :: v_dual_sub_f32 v56, v35, v16
	v_sub_f32_e32 v59, v16, v35
	v_add_f32_e32 v31, v24, v31
	v_fma_f32 v8, -0.5, v52, v0
	v_add_f32_e32 v24, v82, v25
	v_sub_f32_e32 v75, v23, v29
	v_dual_sub_f32 v85, v12, v20 :: v_dual_add_f32 v52, v86, v87
	v_dual_sub_f32 v49, v9, v7 :: v_dual_add_f32 v46, v55, v56
	v_fmamk_f32 v12, v26, 0x3f737871, v6
	v_fma_f32 v0, -0.5, v57, v0
	v_dual_fmac_f32 v6, 0xbf737871, v26 :: v_dual_add_f32 v63, v17, v19
	v_dual_fmamk_f32 v14, v28, 0xbf737871, v61 :: v_dual_sub_f32 v15, v17, v15
	v_add_f32_e32 v79, v11, v30
	v_add_f32_e32 v83, v25, v27
	v_sub_f32_e32 v23, v25, v23
	v_fma_f32 v7, -0.5, v41, v62
	v_dual_fmac_f32 v62, -0.5, v48 :: v_dual_add_f32 v41, v49, v50
	v_fmac_f32_e32 v6, 0xbf167918, v28
	v_dual_add_f32 v25, v13, v32 :: v_dual_add_f32 v32, v18, v66
	v_fmamk_f32 v18, v54, 0xbf737871, v0
	v_add_f32_e32 v50, v77, v78
	v_dual_add_f32 v21, v51, v10 :: v_dual_sub_f32 v34, v34, v33
	v_dual_add_f32 v47, v58, v59 :: v_dual_fmac_f32 v14, 0x3f167918, v26
	v_fma_f32 v9, -0.5, v63, v1
	v_dual_add_f32 v48, v68, v69 :: v_dual_sub_f32 v65, v10, v16
	v_fma_f32 v1, -0.5, v70, v1
	v_fma_f32 v10, -0.5, v74, v2
	v_fmac_f32_e32 v0, 0x3f737871, v54
	v_fma_f32 v11, -0.5, v83, v3
	v_add_f32_e32 v58, v22, v20
	v_fma_f32 v2, -0.5, v79, v2
	v_fmac_f32_e32 v18, 0x3f167918, v53
	v_add_f32_e32 v56, v21, v16
	v_fmamk_f32 v16, v53, 0x3f737871, v8
	v_dual_fmac_f32 v8, 0xbf737871, v53 :: v_dual_add_f32 v49, v15, v72
	v_fmamk_f32 v15, v45, 0x3f737871, v62
	v_fmac_f32_e32 v62, 0xbf737871, v45
	s_delay_alu instid0(VALU_DEP_4)
	v_dual_fmac_f32 v16, 0x3f167918, v54 :: v_dual_add_f32 v17, v60, v17
	v_dual_sub_f32 v89, v27, v29 :: v_dual_fmac_f32 v12, 0x3f167918, v28
	v_dual_fmac_f32 v3, -0.5, v88 :: v_dual_fmac_f32 v0, 0xbf167918, v53
	v_fmac_f32_e32 v61, 0x3f737871, v28
	v_fmamk_f32 v13, v34, 0xbf737871, v7
	v_fmac_f32_e32 v7, 0x3f737871, v34
	v_dual_sub_f32 v81, v20, v30 :: v_dual_fmamk_f32 v20, v75, 0x3f737871, v10
	v_fmamk_f32 v22, v76, 0xbf737871, v2
	v_fmac_f32_e32 v2, 0x3f737871, v76
	v_fmamk_f32 v21, v84, 0xbf737871, v11
	v_dual_fmac_f32 v62, 0x3f167918, v34 :: v_dual_add_f32 v57, v17, v19
	v_fmac_f32_e32 v20, 0x3f167918, v76
	v_fmamk_f32 v17, v64, 0xbf737871, v9
	v_fmac_f32_e32 v9, 0x3f737871, v64
	v_fmamk_f32 v19, v65, 0x3f737871, v1
	v_fmac_f32_e32 v1, 0xbf737871, v65
	v_dual_add_f32 v55, v23, v89 :: v_dual_add_f32 v28, v58, v30
	v_fmac_f32_e32 v10, 0xbf737871, v75
	v_fmac_f32_e32 v11, 0x3f737871, v84
	v_fmamk_f32 v23, v85, 0x3f737871, v3
	v_fmac_f32_e32 v3, 0xbf737871, v85
	s_delay_alu instid0(VALU_DEP_4)
	v_dual_add_f32 v59, v24, v27 :: v_dual_fmac_f32 v10, 0xbf167918, v76
	v_dual_fmac_f32 v61, 0xbf167918, v26 :: v_dual_fmac_f32 v2, 0xbf167918, v75
	v_fmac_f32_e32 v15, 0xbf167918, v34
	v_fmac_f32_e32 v7, 0x3f167918, v45
	;; [unrolled: 1-line block ×3, first 2 shown]
	v_dual_add_f32 v51, v80, v81 :: v_dual_fmac_f32 v8, 0xbf167918, v54
	v_fmac_f32_e32 v17, 0xbf167918, v65
	v_fmac_f32_e32 v9, 0x3f167918, v65
	;; [unrolled: 1-line block ×3, first 2 shown]
	v_dual_fmac_f32 v21, 0xbf167918, v85 :: v_dual_add_f32 v26, v56, v35
	v_dual_add_f32 v27, v57, v71 :: v_dual_fmac_f32 v6, 0x3e9e377a, v90
	v_fmac_f32_e32 v19, 0xbf167918, v64
	v_fmac_f32_e32 v22, 0x3f167918, v75
	v_dual_add_f32 v24, v25, v33 :: v_dual_add_f32 v25, v32, v67
	v_fmac_f32_e32 v12, 0x3e9e377a, v90
	v_fmac_f32_e32 v11, 0x3f167918, v85
	;; [unrolled: 1-line block ×4, first 2 shown]
	v_dual_add_f32 v29, v59, v29 :: v_dual_fmac_f32 v14, 0x3e9e377a, v31
	v_dual_fmac_f32 v61, 0x3e9e377a, v31 :: v_dual_fmac_f32 v62, 0x3e9e377a, v41
	v_dual_fmac_f32 v15, 0x3e9e377a, v41 :: v_dual_fmac_f32 v18, 0x3e9e377a, v47
	;; [unrolled: 1-line block ×9, first 2 shown]
	v_fmac_f32_e32 v11, 0x3e9e377a, v52
	v_fmac_f32_e32 v23, 0x3e9e377a, v55
	;; [unrolled: 1-line block ×3, first 2 shown]
	ds_store_2addr_b64 v44, v[24:25], v[26:27] offset1:34
	ds_store_2addr_b64 v5, v[14:15], v[61:62] offset0:76 offset1:178
	ds_store_b64 v44, v[6:7] offset:3264
	ds_store_2addr_b64 v44, v[28:29], v[12:13] offset0:68 offset1:102
	ds_store_2addr_b64 v44, v[16:17], v[20:21] offset0:136 offset1:170
	;; [unrolled: 1-line block ×5, first 2 shown]
	global_wb scope:SCOPE_SE
	s_wait_dscnt 0x0
	s_barrier_signal -1
	s_barrier_wait -1
	global_inv scope:SCOPE_SE
	ds_load_b64 v[0:1], v42
	v_sub_nc_u32_e32 v6, v37, v43
                                        ; implicit-def: $vgpr5
                                        ; implicit-def: $vgpr7
                                        ; implicit-def: $vgpr2_vgpr3
	v_cmpx_ne_u32_e32 0, v36
	s_wait_alu 0xfffe
	s_xor_b32 s2, exec_lo, s2
	s_cbranch_execz .LBB0_18
; %bb.17:
	ds_load_b64 v[4:5], v6 offset:4080
	s_wait_dscnt 0x0
	v_dual_mov_b32 v37, 0 :: v_dual_add_f32 v8, v5, v1
	s_delay_alu instid0(VALU_DEP_1) | instskip(SKIP_2) | instid1(VALU_DEP_4)
	v_lshlrev_b64_e32 v[2:3], 3, v[36:37]
	v_sub_f32_e32 v7, v0, v4
	v_dual_sub_f32 v1, v1, v5 :: v_dual_add_f32 v0, v4, v0
	v_mul_f32_e32 v4, 0.5, v8
	s_delay_alu instid0(VALU_DEP_4)
	v_add_co_u32 v2, s1, s4, v2
	s_wait_alu 0xf1ff
	v_add_co_ci_u32_e64 v3, s1, s5, v3, s1
	v_mul_f32_e32 v5, 0.5, v7
	v_mul_f32_e32 v1, 0.5, v1
	global_load_b64 v[2:3], v[2:3], off offset:3944
	s_wait_loadcnt 0x0
	v_mul_f32_e32 v7, v3, v5
	v_fma_f32 v8, v4, v3, v1
	v_fma_f32 v1, v4, v3, -v1
	s_delay_alu instid0(VALU_DEP_3) | instskip(SKIP_1) | instid1(VALU_DEP_4)
	v_fma_f32 v9, 0.5, v0, v7
	v_fma_f32 v0, v0, 0.5, -v7
	v_fma_f32 v7, -v2, v5, v8
	s_delay_alu instid0(VALU_DEP_4) | instskip(NEXT) | instid1(VALU_DEP_4)
	v_fma_f32 v5, -v2, v5, v1
	v_fmac_f32_e32 v9, v2, v4
	s_delay_alu instid0(VALU_DEP_4)
	v_fma_f32 v4, -v2, v4, v0
	v_dual_mov_b32 v2, v36 :: v_dual_mov_b32 v3, v37
                                        ; implicit-def: $vgpr0_vgpr1
                                        ; implicit-def: $vgpr37
	ds_store_b32 v42, v9
.LBB0_18:
	s_wait_alu 0xfffe
	s_and_not1_saveexec_b32 s1, s2
	s_cbranch_execz .LBB0_20
; %bb.19:
	ds_load_b32 v2, v37 offset:2044
	s_wait_dscnt 0x1
	v_dual_mov_b32 v7, 0 :: v_dual_add_f32 v8, v0, v1
	s_delay_alu instid0(VALU_DEP_1)
	v_dual_sub_f32 v4, v0, v1 :: v_dual_mov_b32 v5, v7
	s_wait_dscnt 0x0
	v_xor_b32_e32 v0, 0x80000000, v2
	v_mov_b32_e32 v2, 0
	v_mov_b32_e32 v3, 0
	ds_store_b32 v42, v8
	ds_store_b32 v37, v0 offset:2044
.LBB0_20:
	s_wait_alu 0xfffe
	s_or_b32 exec_lo, exec_lo, s1
	s_wait_dscnt 0x0
	v_lshlrev_b64_e32 v[0:1], 3, v[2:3]
	s_add_nc_u64 s[2:3], s[4:5], 0xf68
	s_wait_alu 0xfffe
	s_delay_alu instid0(VALU_DEP_1) | instskip(SKIP_1) | instid1(VALU_DEP_2)
	v_add_co_u32 v2, s1, s2, v0
	s_wait_alu 0xf1ff
	v_add_co_ci_u32_e64 v3, s1, s3, v1, s1
	s_clause 0x5
	global_load_b64 v[8:9], v[2:3], off offset:272
	global_load_b64 v[10:11], v[2:3], off offset:544
	;; [unrolled: 1-line block ×6, first 2 shown]
	ds_store_b32 v42, v7 offset:4
	ds_store_b64 v6, v[4:5] offset:4080
	ds_load_b64 v[4:5], v42 offset:272
	ds_load_b64 v[20:21], v6 offset:3808
	s_wait_dscnt 0x0
	v_dual_sub_f32 v7, v4, v20 :: v_dual_add_f32 v22, v5, v21
	v_dual_sub_f32 v5, v5, v21 :: v_dual_add_f32 v20, v4, v20
	s_delay_alu instid0(VALU_DEP_2) | instskip(NEXT) | instid1(VALU_DEP_3)
	v_mul_f32_e32 v21, 0.5, v22
	v_mul_f32_e32 v7, 0.5, v7
	s_wait_loadcnt 0x5
	s_delay_alu instid0(VALU_DEP_1) | instskip(NEXT) | instid1(VALU_DEP_1)
	v_dual_mul_f32 v5, 0.5, v5 :: v_dual_mul_f32 v22, v9, v7
	v_fma_f32 v23, v21, v9, v5
	v_fma_f32 v9, v21, v9, -v5
	s_delay_alu instid0(VALU_DEP_3) | instskip(SKIP_1) | instid1(VALU_DEP_2)
	v_fma_f32 v4, 0.5, v20, v22
	v_fma_f32 v20, v20, 0.5, -v22
	v_fmac_f32_e32 v4, v8, v21
	v_fma_f32 v5, -v8, v7, v23
	v_fma_f32 v9, -v8, v7, v9
	s_delay_alu instid0(VALU_DEP_4)
	v_fma_f32 v8, -v8, v21, v20
	ds_store_b64 v42, v[4:5] offset:272
	ds_store_b64 v6, v[8:9] offset:3808
	ds_load_b64 v[4:5], v42 offset:544
	ds_load_b64 v[7:8], v6 offset:3536
	s_wait_dscnt 0x0
	v_dual_sub_f32 v9, v4, v7 :: v_dual_add_f32 v20, v5, v8
	s_delay_alu instid0(VALU_DEP_1) | instskip(NEXT) | instid1(VALU_DEP_2)
	v_dual_sub_f32 v5, v5, v8 :: v_dual_mul_f32 v8, 0.5, v9
	v_mul_f32_e32 v9, 0.5, v20
	v_add_f32_e32 v7, v4, v7
	s_wait_loadcnt 0x4
	s_delay_alu instid0(VALU_DEP_3) | instskip(NEXT) | instid1(VALU_DEP_1)
	v_dual_mul_f32 v5, 0.5, v5 :: v_dual_mul_f32 v20, v11, v8
	v_fma_f32 v21, v9, v11, v5
	v_fma_f32 v11, v9, v11, -v5
	s_delay_alu instid0(VALU_DEP_3) | instskip(NEXT) | instid1(VALU_DEP_3)
	v_fma_f32 v4, 0.5, v7, v20
	v_fma_f32 v5, -v10, v8, v21
	s_delay_alu instid0(VALU_DEP_3) | instskip(NEXT) | instid1(VALU_DEP_3)
	v_fma_f32 v8, -v10, v8, v11
	v_fmac_f32_e32 v4, v10, v9
	v_fma_f32 v7, v7, 0.5, -v20
	s_delay_alu instid0(VALU_DEP_1)
	v_fma_f32 v7, -v10, v9, v7
	ds_store_b64 v42, v[4:5] offset:544
	ds_store_b64 v6, v[7:8] offset:3536
	ds_load_b64 v[4:5], v42 offset:816
	ds_load_b64 v[7:8], v6 offset:3264
	s_wait_dscnt 0x0
	v_dual_sub_f32 v9, v4, v7 :: v_dual_add_f32 v10, v5, v8
	v_sub_f32_e32 v5, v5, v8
	s_delay_alu instid0(VALU_DEP_2) | instskip(NEXT) | instid1(VALU_DEP_3)
	v_dual_add_f32 v7, v4, v7 :: v_dual_mul_f32 v8, 0.5, v9
	v_mul_f32_e32 v9, 0.5, v10
	s_wait_loadcnt 0x3
	s_delay_alu instid0(VALU_DEP_2) | instskip(NEXT) | instid1(VALU_DEP_1)
	v_dual_mul_f32 v5, 0.5, v5 :: v_dual_mul_f32 v10, v13, v8
	v_fma_f32 v11, v9, v13, v5
	v_fma_f32 v13, v9, v13, -v5
	s_delay_alu instid0(VALU_DEP_3) | instskip(SKIP_1) | instid1(VALU_DEP_4)
	v_fma_f32 v4, 0.5, v7, v10
	v_fma_f32 v7, v7, 0.5, -v10
	v_fma_f32 v5, -v12, v8, v11
	s_delay_alu instid0(VALU_DEP_4) | instskip(NEXT) | instid1(VALU_DEP_4)
	v_fma_f32 v8, -v12, v8, v13
	v_fmac_f32_e32 v4, v12, v9
	s_delay_alu instid0(VALU_DEP_4)
	v_fma_f32 v7, -v12, v9, v7
	ds_store_b64 v42, v[4:5] offset:816
	ds_store_b64 v6, v[7:8] offset:3264
	ds_load_b64 v[4:5], v42 offset:1088
	ds_load_b64 v[7:8], v6 offset:2992
	s_wait_dscnt 0x0
	v_dual_sub_f32 v9, v4, v7 :: v_dual_add_f32 v10, v5, v8
	s_delay_alu instid0(VALU_DEP_1) | instskip(NEXT) | instid1(VALU_DEP_2)
	v_dual_sub_f32 v5, v5, v8 :: v_dual_mul_f32 v8, 0.5, v9
	v_mul_f32_e32 v9, 0.5, v10
	v_add_f32_e32 v7, v4, v7
	s_wait_loadcnt 0x2
	s_delay_alu instid0(VALU_DEP_3) | instskip(NEXT) | instid1(VALU_DEP_1)
	v_dual_mul_f32 v5, 0.5, v5 :: v_dual_mul_f32 v10, v15, v8
	v_fma_f32 v11, v9, v15, v5
	v_fma_f32 v12, v9, v15, -v5
	s_delay_alu instid0(VALU_DEP_3) | instskip(NEXT) | instid1(VALU_DEP_3)
	v_fma_f32 v4, 0.5, v7, v10
	v_fma_f32 v5, -v14, v8, v11
	s_delay_alu instid0(VALU_DEP_3) | instskip(NEXT) | instid1(VALU_DEP_3)
	v_fma_f32 v8, -v14, v8, v12
	v_fmac_f32_e32 v4, v14, v9
	v_fma_f32 v7, v7, 0.5, -v10
	s_delay_alu instid0(VALU_DEP_1)
	v_fma_f32 v7, -v14, v9, v7
	ds_store_b64 v42, v[4:5] offset:1088
	ds_store_b64 v6, v[7:8] offset:2992
	ds_load_b64 v[4:5], v42 offset:1360
	ds_load_b64 v[7:8], v6 offset:2720
	s_wait_dscnt 0x0
	v_dual_sub_f32 v9, v4, v7 :: v_dual_add_f32 v10, v5, v8
	v_sub_f32_e32 v5, v5, v8
	s_delay_alu instid0(VALU_DEP_2) | instskip(NEXT) | instid1(VALU_DEP_3)
	v_dual_add_f32 v7, v4, v7 :: v_dual_mul_f32 v8, 0.5, v9
	v_mul_f32_e32 v9, 0.5, v10
	s_wait_loadcnt 0x1
	s_delay_alu instid0(VALU_DEP_2) | instskip(NEXT) | instid1(VALU_DEP_1)
	v_dual_mul_f32 v5, 0.5, v5 :: v_dual_mul_f32 v10, v17, v8
	v_fma_f32 v11, v9, v17, v5
	v_fma_f32 v12, v9, v17, -v5
	s_delay_alu instid0(VALU_DEP_3) | instskip(SKIP_1) | instid1(VALU_DEP_4)
	v_fma_f32 v4, 0.5, v7, v10
	v_fma_f32 v7, v7, 0.5, -v10
	v_fma_f32 v5, -v16, v8, v11
	s_delay_alu instid0(VALU_DEP_4) | instskip(NEXT) | instid1(VALU_DEP_4)
	v_fma_f32 v8, -v16, v8, v12
	v_fmac_f32_e32 v4, v16, v9
	s_delay_alu instid0(VALU_DEP_4)
	v_fma_f32 v7, -v16, v9, v7
	ds_store_b64 v42, v[4:5] offset:1360
	ds_store_b64 v6, v[7:8] offset:2720
	ds_load_b64 v[4:5], v42 offset:1632
	ds_load_b64 v[7:8], v6 offset:2448
	s_wait_dscnt 0x0
	v_dual_sub_f32 v9, v4, v7 :: v_dual_add_f32 v10, v5, v8
	s_delay_alu instid0(VALU_DEP_1) | instskip(NEXT) | instid1(VALU_DEP_2)
	v_dual_sub_f32 v5, v5, v8 :: v_dual_mul_f32 v8, 0.5, v9
	v_mul_f32_e32 v9, 0.5, v10
	v_add_f32_e32 v7, v4, v7
	s_wait_loadcnt 0x0
	s_delay_alu instid0(VALU_DEP_3) | instskip(NEXT) | instid1(VALU_DEP_1)
	v_dual_mul_f32 v5, 0.5, v5 :: v_dual_mul_f32 v10, v19, v8
	v_fma_f32 v11, v9, v19, v5
	v_fma_f32 v12, v9, v19, -v5
	s_delay_alu instid0(VALU_DEP_3) | instskip(NEXT) | instid1(VALU_DEP_3)
	v_fma_f32 v4, 0.5, v7, v10
	v_fma_f32 v5, -v18, v8, v11
	s_delay_alu instid0(VALU_DEP_3) | instskip(NEXT) | instid1(VALU_DEP_3)
	v_fma_f32 v8, -v18, v8, v12
	v_fmac_f32_e32 v4, v18, v9
	v_fma_f32 v7, v7, 0.5, -v10
	s_delay_alu instid0(VALU_DEP_1)
	v_fma_f32 v7, -v18, v9, v7
	ds_store_b64 v42, v[4:5] offset:1632
	ds_store_b64 v6, v[7:8] offset:2448
	s_and_saveexec_b32 s1, s0
	s_cbranch_execz .LBB0_22
; %bb.21:
	global_load_b64 v[2:3], v[2:3], off offset:1904
	ds_load_b64 v[4:5], v42 offset:1904
	ds_load_b64 v[7:8], v6 offset:2176
	s_wait_dscnt 0x0
	v_dual_sub_f32 v9, v4, v7 :: v_dual_add_f32 v10, v5, v8
	v_dual_sub_f32 v5, v5, v8 :: v_dual_add_f32 v4, v4, v7
	s_delay_alu instid0(VALU_DEP_2) | instskip(NEXT) | instid1(VALU_DEP_2)
	v_dual_mul_f32 v8, 0.5, v9 :: v_dual_mul_f32 v9, 0.5, v10
	v_mul_f32_e32 v5, 0.5, v5
	s_wait_loadcnt 0x0
	s_delay_alu instid0(VALU_DEP_2) | instskip(NEXT) | instid1(VALU_DEP_2)
	v_mul_f32_e32 v7, v3, v8
	v_fma_f32 v10, v9, v3, v5
	v_fma_f32 v5, v9, v3, -v5
	s_delay_alu instid0(VALU_DEP_3) | instskip(SKIP_1) | instid1(VALU_DEP_4)
	v_fma_f32 v3, 0.5, v4, v7
	v_fma_f32 v7, v4, 0.5, -v7
	v_fma_f32 v4, -v2, v8, v10
	s_delay_alu instid0(VALU_DEP_4) | instskip(NEXT) | instid1(VALU_DEP_4)
	v_fma_f32 v8, -v2, v8, v5
	v_fmac_f32_e32 v3, v2, v9
	s_delay_alu instid0(VALU_DEP_4)
	v_fma_f32 v7, -v2, v9, v7
	ds_store_b64 v42, v[3:4] offset:1904
	ds_store_b64 v6, v[7:8] offset:2176
.LBB0_22:
	s_wait_alu 0xfffe
	s_or_b32 exec_lo, exec_lo, s1
	global_wb scope:SCOPE_SE
	s_wait_dscnt 0x0
	s_barrier_signal -1
	s_barrier_wait -1
	global_inv scope:SCOPE_SE
	s_and_saveexec_b32 s0, vcc_lo
	s_cbranch_execz .LBB0_25
; %bb.23:
	v_add_nc_u32_e32 v28, 0x800, v42
	ds_load_2addr_b64 v[4:7], v42 offset1:34
	ds_load_2addr_b64 v[8:11], v42 offset0:68 offset1:102
	ds_load_2addr_b64 v[12:15], v42 offset0:136 offset1:170
	ds_load_2addr_b64 v[16:19], v42 offset0:204 offset1:238
	v_add_co_u32 v2, vcc_lo, s8, v38
	s_wait_alu 0xfffd
	v_add_co_ci_u32_e32 v3, vcc_lo, s9, v39, vcc_lo
	ds_load_2addr_b64 v[20:23], v28 offset0:16 offset1:50
	ds_load_2addr_b64 v[24:27], v28 offset0:84 offset1:118
	;; [unrolled: 1-line block ×3, first 2 shown]
	ds_load_b64 v[32:33], v42 offset:3808
	v_add_co_u32 v0, vcc_lo, v2, v0
	s_wait_alu 0xfffd
	v_add_co_ci_u32_e32 v1, vcc_lo, v3, v1, vcc_lo
	v_cmp_eq_u32_e32 vcc_lo, 33, v36
	s_wait_dscnt 0x7
	s_clause 0x1
	global_store_b64 v[0:1], v[4:5], off
	global_store_b64 v[0:1], v[6:7], off offset:272
	s_wait_dscnt 0x6
	s_clause 0x1
	global_store_b64 v[0:1], v[8:9], off offset:544
	global_store_b64 v[0:1], v[10:11], off offset:816
	s_wait_dscnt 0x5
	s_clause 0x1
	global_store_b64 v[0:1], v[12:13], off offset:1088
	;; [unrolled: 4-line block ×6, first 2 shown]
	global_store_b64 v[0:1], v[30:31], off offset:3536
	s_wait_dscnt 0x0
	global_store_b64 v[0:1], v[32:33], off offset:3808
	s_and_b32 exec_lo, exec_lo, vcc_lo
	s_cbranch_execz .LBB0_25
; %bb.24:
	ds_load_b64 v[0:1], v42 offset:3816
	s_wait_dscnt 0x0
	global_store_b64 v[2:3], v[0:1], off offset:4080
.LBB0_25:
	s_nop 0
	s_sendmsg sendmsg(MSG_DEALLOC_VGPRS)
	s_endpgm
	.section	.rodata,"a",@progbits
	.p2align	6, 0x0
	.amdhsa_kernel fft_rtc_fwd_len510_factors_17_2_3_5_wgs_238_tpt_34_halfLds_sp_ip_CI_unitstride_sbrr_R2C_dirReg
		.amdhsa_group_segment_fixed_size 0
		.amdhsa_private_segment_fixed_size 0
		.amdhsa_kernarg_size 88
		.amdhsa_user_sgpr_count 2
		.amdhsa_user_sgpr_dispatch_ptr 0
		.amdhsa_user_sgpr_queue_ptr 0
		.amdhsa_user_sgpr_kernarg_segment_ptr 1
		.amdhsa_user_sgpr_dispatch_id 0
		.amdhsa_user_sgpr_private_segment_size 0
		.amdhsa_wavefront_size32 1
		.amdhsa_uses_dynamic_stack 0
		.amdhsa_enable_private_segment 0
		.amdhsa_system_sgpr_workgroup_id_x 1
		.amdhsa_system_sgpr_workgroup_id_y 0
		.amdhsa_system_sgpr_workgroup_id_z 0
		.amdhsa_system_sgpr_workgroup_info 0
		.amdhsa_system_vgpr_workitem_id 0
		.amdhsa_next_free_vgpr 170
		.amdhsa_next_free_sgpr 32
		.amdhsa_reserve_vcc 1
		.amdhsa_float_round_mode_32 0
		.amdhsa_float_round_mode_16_64 0
		.amdhsa_float_denorm_mode_32 3
		.amdhsa_float_denorm_mode_16_64 3
		.amdhsa_fp16_overflow 0
		.amdhsa_workgroup_processor_mode 1
		.amdhsa_memory_ordered 1
		.amdhsa_forward_progress 0
		.amdhsa_round_robin_scheduling 0
		.amdhsa_exception_fp_ieee_invalid_op 0
		.amdhsa_exception_fp_denorm_src 0
		.amdhsa_exception_fp_ieee_div_zero 0
		.amdhsa_exception_fp_ieee_overflow 0
		.amdhsa_exception_fp_ieee_underflow 0
		.amdhsa_exception_fp_ieee_inexact 0
		.amdhsa_exception_int_div_zero 0
	.end_amdhsa_kernel
	.text
.Lfunc_end0:
	.size	fft_rtc_fwd_len510_factors_17_2_3_5_wgs_238_tpt_34_halfLds_sp_ip_CI_unitstride_sbrr_R2C_dirReg, .Lfunc_end0-fft_rtc_fwd_len510_factors_17_2_3_5_wgs_238_tpt_34_halfLds_sp_ip_CI_unitstride_sbrr_R2C_dirReg
                                        ; -- End function
	.section	.AMDGPU.csdata,"",@progbits
; Kernel info:
; codeLenInByte = 13584
; NumSgprs: 34
; NumVgprs: 170
; ScratchSize: 0
; MemoryBound: 0
; FloatMode: 240
; IeeeMode: 1
; LDSByteSize: 0 bytes/workgroup (compile time only)
; SGPRBlocks: 4
; VGPRBlocks: 21
; NumSGPRsForWavesPerEU: 34
; NumVGPRsForWavesPerEU: 170
; Occupancy: 8
; WaveLimiterHint : 1
; COMPUTE_PGM_RSRC2:SCRATCH_EN: 0
; COMPUTE_PGM_RSRC2:USER_SGPR: 2
; COMPUTE_PGM_RSRC2:TRAP_HANDLER: 0
; COMPUTE_PGM_RSRC2:TGID_X_EN: 1
; COMPUTE_PGM_RSRC2:TGID_Y_EN: 0
; COMPUTE_PGM_RSRC2:TGID_Z_EN: 0
; COMPUTE_PGM_RSRC2:TIDIG_COMP_CNT: 0
	.text
	.p2alignl 7, 3214868480
	.fill 96, 4, 3214868480
	.type	__hip_cuid_3fa32c763d7e6a13,@object ; @__hip_cuid_3fa32c763d7e6a13
	.section	.bss,"aw",@nobits
	.globl	__hip_cuid_3fa32c763d7e6a13
__hip_cuid_3fa32c763d7e6a13:
	.byte	0                               ; 0x0
	.size	__hip_cuid_3fa32c763d7e6a13, 1

	.ident	"AMD clang version 19.0.0git (https://github.com/RadeonOpenCompute/llvm-project roc-6.4.0 25133 c7fe45cf4b819c5991fe208aaa96edf142730f1d)"
	.section	".note.GNU-stack","",@progbits
	.addrsig
	.addrsig_sym __hip_cuid_3fa32c763d7e6a13
	.amdgpu_metadata
---
amdhsa.kernels:
  - .args:
      - .actual_access:  read_only
        .address_space:  global
        .offset:         0
        .size:           8
        .value_kind:     global_buffer
      - .offset:         8
        .size:           8
        .value_kind:     by_value
      - .actual_access:  read_only
        .address_space:  global
        .offset:         16
        .size:           8
        .value_kind:     global_buffer
      - .actual_access:  read_only
        .address_space:  global
        .offset:         24
        .size:           8
        .value_kind:     global_buffer
      - .offset:         32
        .size:           8
        .value_kind:     by_value
      - .actual_access:  read_only
        .address_space:  global
        .offset:         40
        .size:           8
        .value_kind:     global_buffer
      - .actual_access:  read_only
        .address_space:  global
        .offset:         48
        .size:           8
        .value_kind:     global_buffer
      - .offset:         56
        .size:           4
        .value_kind:     by_value
      - .actual_access:  read_only
        .address_space:  global
        .offset:         64
        .size:           8
        .value_kind:     global_buffer
      - .actual_access:  read_only
        .address_space:  global
        .offset:         72
        .size:           8
        .value_kind:     global_buffer
      - .address_space:  global
        .offset:         80
        .size:           8
        .value_kind:     global_buffer
    .group_segment_fixed_size: 0
    .kernarg_segment_align: 8
    .kernarg_segment_size: 88
    .language:       OpenCL C
    .language_version:
      - 2
      - 0
    .max_flat_workgroup_size: 238
    .name:           fft_rtc_fwd_len510_factors_17_2_3_5_wgs_238_tpt_34_halfLds_sp_ip_CI_unitstride_sbrr_R2C_dirReg
    .private_segment_fixed_size: 0
    .sgpr_count:     34
    .sgpr_spill_count: 0
    .symbol:         fft_rtc_fwd_len510_factors_17_2_3_5_wgs_238_tpt_34_halfLds_sp_ip_CI_unitstride_sbrr_R2C_dirReg.kd
    .uniform_work_group_size: 1
    .uses_dynamic_stack: false
    .vgpr_count:     170
    .vgpr_spill_count: 0
    .wavefront_size: 32
    .workgroup_processor_mode: 1
amdhsa.target:   amdgcn-amd-amdhsa--gfx1201
amdhsa.version:
  - 1
  - 2
...

	.end_amdgpu_metadata
